;; amdgpu-corpus repo=ROCm/rocBLAS kind=compiled arch=gfx1030 opt=O3
	.amdgcn_target "amdgcn-amd-amdhsa--gfx1030"
	.amdhsa_code_object_version 6
	.section	.text._ZL19rocblas_hpr2_kernelILi64ELi16ELi2EPK19rocblas_complex_numIfES3_PS1_EvbiT2_T3_lllS6_lllT4_lli,"axG",@progbits,_ZL19rocblas_hpr2_kernelILi64ELi16ELi2EPK19rocblas_complex_numIfES3_PS1_EvbiT2_T3_lllS6_lllT4_lli,comdat
	.globl	_ZL19rocblas_hpr2_kernelILi64ELi16ELi2EPK19rocblas_complex_numIfES3_PS1_EvbiT2_T3_lllS6_lllT4_lli ; -- Begin function _ZL19rocblas_hpr2_kernelILi64ELi16ELi2EPK19rocblas_complex_numIfES3_PS1_EvbiT2_T3_lllS6_lllT4_lli
	.p2align	8
	.type	_ZL19rocblas_hpr2_kernelILi64ELi16ELi2EPK19rocblas_complex_numIfES3_PS1_EvbiT2_T3_lllS6_lllT4_lli,@function
_ZL19rocblas_hpr2_kernelILi64ELi16ELi2EPK19rocblas_complex_numIfES3_PS1_EvbiT2_T3_lllS6_lllT4_lli: ; @_ZL19rocblas_hpr2_kernelILi64ELi16ELi2EPK19rocblas_complex_numIfES3_PS1_EvbiT2_T3_lllS6_lllT4_lli
; %bb.0:
	s_load_dwordx16 s[12:27], s[4:5], 0x8
	s_waitcnt lgkmcnt(0)
	s_load_dwordx2 s[10:11], s[12:13], 0x0
	s_waitcnt lgkmcnt(0)
	v_cmp_neq_f32_e64 s0, s10, 0
	v_cmp_neq_f32_e64 s1, s11, 0
	s_or_b32 s0, s0, s1
	s_andn2_b32 vcc_lo, exec_lo, s0
	s_cbranch_vccnz .LBB0_23
; %bb.1:
	s_load_dwordx2 s[12:13], s[4:5], 0x0
	v_lshl_add_u32 v9, s6, 7, v0
	v_lshl_add_u32 v2, s7, 4, v1
                                        ; implicit-def: $vgpr0
	s_waitcnt lgkmcnt(0)
	s_bitcmp1_b32 s12, 0
	s_cselect_b32 s0, -1, 0
	s_xor_b32 s28, s0, -1
	s_mov_b32 s0, -1
	s_and_b32 vcc_lo, exec_lo, s28
	s_cbranch_vccz .LBB0_3
; %bb.2:
	s_lshl_b32 s0, s13, 1
	v_sub_nc_u32_e32 v0, s0, v2
	s_mov_b32 s0, 0
	v_mad_u64_u32 v[0:1], null, v2, v0, v[2:3]
	v_lshrrev_b32_e32 v1, 31, v0
	v_add_nc_u32_e32 v0, v0, v1
	v_sub_nc_u32_e32 v1, v9, v2
	v_ashrrev_i32_e32 v0, 1, v0
	v_add_nc_u32_e32 v0, v1, v0
.LBB0_3:
	s_andn2_b32 vcc_lo, exec_lo, s0
	s_cbranch_vccnz .LBB0_5
; %bb.4:
	v_mad_u64_u32 v[0:1], null, v2, v2, v[2:3]
	v_lshrrev_b32_e32 v1, 31, v0
	v_add_nc_u32_e32 v0, v0, v1
	v_ashrrev_i32_e32 v0, 1, v0
	v_add_nc_u32_e32 v0, v0, v9
.LBB0_5:
	s_load_dwordx8 s[0:7], s[4:5], 0x48
	s_mul_i32 s9, s21, s8
	s_mul_hi_u32 s12, s20, s8
	s_mul_i32 s20, s20, s8
	s_add_i32 s21, s12, s9
	v_ashrrev_i32_e32 v1, 31, v2
	s_lshl_b64 s[20:21], s[20:21], 3
	v_mul_lo_u32 v7, s27, v2
	s_add_u32 s9, s14, s20
	s_addc_u32 s12, s15, s21
	s_lshl_b64 s[14:15], s[16:17], 3
	v_mad_u64_u32 v[3:4], null, s26, v2, 0
	s_add_u32 s9, s9, s14
	s_addc_u32 s12, s12, s15
	v_mul_lo_u32 v8, s19, v2
	v_mul_lo_u32 v10, s26, v1
	;; [unrolled: 1-line block ×3, first 2 shown]
	v_mad_u64_u32 v[5:6], null, s18, v2, 0
	s_waitcnt lgkmcnt(0)
	s_mul_i32 s1, s1, s8
	s_mul_hi_u32 s14, s0, s8
	s_mul_i32 s0, s0, s8
	s_add_i32 s1, s14, s1
	s_mul_i32 s15, s7, s8
	s_lshl_b64 s[0:1], s[0:1], 3
	s_mul_hi_u32 s16, s6, s8
	s_add_u32 s7, s22, s0
	s_addc_u32 s17, s23, s1
	s_lshl_b64 s[0:1], s[24:25], 3
	s_mul_i32 s14, s6, s8
	s_add_u32 s6, s7, s0
	s_addc_u32 s7, s17, s1
	s_add_i32 s15, s16, s15
	v_add3_u32 v4, v4, v10, v7
	v_add3_u32 v6, v6, v1, v8
	s_lshl_b64 s[0:1], s[14:15], 3
	s_add_u32 s2, s2, s0
	s_addc_u32 s3, s3, s1
	s_lshl_b64 s[0:1], s[4:5], 3
	v_lshlrev_b64 v[3:4], 3, v[3:4]
	v_lshlrev_b64 v[7:8], 3, v[5:6]
	s_add_u32 s2, s2, s0
	v_cmp_gt_i32_e64 s0, s13, v2
	s_addc_u32 s3, s3, s1
	s_and_b32 vcc_lo, exec_lo, s28
	s_cbranch_vccz .LBB0_7
; %bb.6:
	v_cmp_le_i32_e32 vcc_lo, s13, v9
	v_cmp_le_i32_e64 s1, v9, v2
	s_mov_b32 s5, 0
	s_mov_b32 s4, -1
	s_or_b32 s1, s1, vcc_lo
	s_and_b32 s1, s1, exec_lo
	s_branch .LBB0_8
.LBB0_7:
	s_mov_b32 s5, -1
	s_mov_b32 s1, 0
	s_mov_b32 s4, 0
.LBB0_8:
	v_add_co_u32 v5, vcc_lo, s6, v3
	v_add_co_ci_u32_e64 v6, null, s7, v4, vcc_lo
	v_add_co_u32 v3, vcc_lo, s9, v7
	v_add_co_ci_u32_e64 v4, null, s12, v8, vcc_lo
	s_andn2_b32 vcc_lo, exec_lo, s5
	s_cbranch_vccz .LBB0_14
; %bb.9:
	s_and_saveexec_b32 s5, s1
	s_xor_b32 s5, exec_lo, s5
	s_cbranch_execnz .LBB0_15
.LBB0_10:
	s_or_b32 exec_lo, exec_lo, s5
	v_ashrrev_i32_e32 v1, 31, v0
	s_and_saveexec_b32 s1, s4
	s_cbranch_execz .LBB0_12
.LBB0_11:
	v_ashrrev_i32_e32 v12, 31, v9
	v_mul_lo_u32 v13, s19, v9
	v_mad_u64_u32 v[7:8], null, s18, v9, 0
	v_mul_lo_u32 v15, s27, v9
	v_mul_lo_u32 v14, s18, v12
	v_mad_u64_u32 v[10:11], null, s26, v9, 0
	v_mul_lo_u32 v12, s26, v12
	v_lshlrev_b64 v[16:17], 3, v[0:1]
	v_add3_u32 v8, v8, v14, v13
	v_add3_u32 v11, v11, v12, v15
	v_lshlrev_b64 v[7:8], 3, v[7:8]
	v_lshlrev_b64 v[10:11], 3, v[10:11]
	v_add_co_u32 v7, vcc_lo, s9, v7
	v_add_co_ci_u32_e64 v8, null, s12, v8, vcc_lo
	v_add_co_u32 v10, vcc_lo, s6, v10
	v_add_co_ci_u32_e64 v11, null, s7, v11, vcc_lo
	global_load_dwordx2 v[7:8], v[7:8], off
	s_clause 0x1
	global_load_dwordx2 v[10:11], v[10:11], off
	global_load_dwordx2 v[12:13], v[5:6], off
	global_load_dwordx2 v[14:15], v[3:4], off
	v_add_co_u32 v16, vcc_lo, s2, v16
	v_add_co_ci_u32_e64 v17, null, s3, v17, vcc_lo
	global_load_dwordx2 v[18:19], v[16:17], off
	s_waitcnt vmcnt(4)
	v_mul_f32_e32 v20, s10, v8
	v_mul_f32_e32 v8, s11, v8
	s_waitcnt vmcnt(3)
	v_mul_f32_e32 v21, s11, v10
	v_mul_f32_e32 v22, s11, v11
	v_fmac_f32_e32 v20, s11, v7
	v_fma_f32 v7, s10, v7, -v8
	v_fma_f32 v8, s10, v11, -v21
	v_fmac_f32_e32 v22, s10, v10
	s_waitcnt vmcnt(2)
	v_mul_f32_e32 v10, v13, v20
	v_mul_f32_e32 v11, v13, v7
	s_waitcnt vmcnt(1)
	v_mul_f32_e32 v13, v15, v8
	v_mul_f32_e32 v15, v15, v22
	v_fmac_f32_e32 v10, v12, v7
	v_fma_f32 v7, v12, v20, -v11
	v_fmac_f32_e32 v13, v14, v22
	v_fma_f32 v8, v14, v8, -v15
	v_add_f32_e32 v10, v10, v13
	v_add_f32_e32 v8, v7, v8
	s_waitcnt vmcnt(0)
	v_add_f32_e32 v7, v18, v10
	v_add_f32_e32 v8, v19, v8
	global_store_dwordx2 v[16:17], v[7:8], off
.LBB0_12:
	s_or_b32 exec_lo, exec_lo, s1
	v_add_nc_u32_e32 v7, 64, v9
	s_andn2_b32 vcc_lo, exec_lo, s28
	v_cmp_gt_i32_e64 s1, s13, v7
	s_cbranch_vccnz .LBB0_18
; %bb.13:
	v_cmp_lt_i32_e32 vcc_lo, v2, v7
	s_and_b32 s1, s1, vcc_lo
	s_xor_b32 s5, s1, -1
	s_and_b32 s1, s1, exec_lo
	s_and_b32 s5, s5, exec_lo
	s_cbranch_execz .LBB0_19
	s_branch .LBB0_20
.LBB0_14:
	v_cmp_lt_i32_e32 vcc_lo, v9, v2
	s_andn2_b32 s4, s4, exec_lo
	s_andn2_b32 s1, s1, exec_lo
	s_and_b32 s5, vcc_lo, s0
	s_xor_b32 s8, s5, -1
	s_and_b32 s5, s5, exec_lo
	s_and_b32 s8, s8, exec_lo
	s_or_b32 s4, s4, s5
	s_or_b32 s1, s1, s8
	s_and_saveexec_b32 s5, s1
	s_xor_b32 s5, exec_lo, s5
	s_cbranch_execz .LBB0_10
.LBB0_15:
	v_cmp_eq_u32_e32 vcc_lo, v9, v2
	v_cmp_gt_i32_e64 s1, s13, v9
	s_and_b32 s8, vcc_lo, s1
	s_and_saveexec_b32 s1, s8
	s_cbranch_execz .LBB0_17
; %bb.16:
	v_ashrrev_i32_e32 v1, 31, v9
	v_mul_lo_u32 v12, s19, v9
	v_mad_u64_u32 v[7:8], null, s18, v9, 0
	v_mul_lo_u32 v14, s27, v9
	v_mul_lo_u32 v13, s18, v1
	v_mad_u64_u32 v[10:11], null, s26, v9, 0
	v_mul_lo_u32 v1, s26, v1
	v_add3_u32 v8, v8, v13, v12
	v_add3_u32 v11, v11, v1, v14
	v_ashrrev_i32_e32 v1, 31, v0
	v_lshlrev_b64 v[7:8], 3, v[7:8]
	v_lshlrev_b64 v[10:11], 3, v[10:11]
	;; [unrolled: 1-line block ×3, first 2 shown]
	v_add_co_u32 v7, vcc_lo, s9, v7
	v_add_co_ci_u32_e64 v8, null, s12, v8, vcc_lo
	v_add_co_u32 v10, vcc_lo, s6, v10
	v_add_co_ci_u32_e64 v11, null, s7, v11, vcc_lo
	global_load_dwordx2 v[7:8], v[7:8], off
	v_add_co_u32 v12, vcc_lo, s2, v12
	s_clause 0x1
	global_load_dwordx2 v[10:11], v[10:11], off
	global_load_dwordx2 v[14:15], v[5:6], off
	;; [unrolled: 1-line block ×3, first 2 shown]
	v_add_co_ci_u32_e64 v13, null, s3, v13, vcc_lo
	global_load_dword v1, v[12:13], off
	s_waitcnt vmcnt(4)
	v_mul_f32_e32 v18, s10, v8
	v_mul_f32_e32 v8, s11, v8
	s_waitcnt vmcnt(3)
	v_mul_f32_e32 v19, s11, v10
	v_mul_f32_e32 v20, s11, v11
	v_fmac_f32_e32 v18, s11, v7
	v_fma_f32 v7, s10, v7, -v8
	v_fma_f32 v8, s10, v11, -v19
	v_fmac_f32_e32 v20, s10, v10
	s_waitcnt vmcnt(2)
	v_mul_f32_e32 v11, v15, v18
	v_mul_f32_e32 v10, v15, v7
	s_waitcnt vmcnt(1)
	v_mul_f32_e32 v15, v17, v8
	v_fmac_f32_e32 v11, v14, v7
	v_mul_f32_e32 v7, v17, v20
	v_fma_f32 v10, v14, v18, -v10
	v_fmac_f32_e32 v15, v16, v20
	s_waitcnt vmcnt(0)
	v_add_f32_e32 v1, v1, v11
	v_fma_f32 v8, v16, v8, -v7
	v_add_f32_e32 v7, v1, v15
	v_add_f32_e32 v8, v10, v8
	global_store_dwordx2 v[12:13], v[7:8], off
.LBB0_17:
	s_or_b32 exec_lo, exec_lo, s1
	s_andn2_b32 s4, s4, exec_lo
	s_or_b32 exec_lo, exec_lo, s5
	v_ashrrev_i32_e32 v1, 31, v0
	s_and_saveexec_b32 s1, s4
	s_cbranch_execnz .LBB0_11
	s_branch .LBB0_12
.LBB0_18:
	s_mov_b32 s5, 0
	s_mov_b32 s1, 0
.LBB0_19:
	v_cmp_ge_i32_e32 vcc_lo, v7, v2
	s_xor_b32 s0, s0, -1
	s_andn2_b32 s4, s5, exec_lo
	s_or_b32 s1, s1, exec_lo
	s_or_b32 s0, s0, vcc_lo
	s_and_b32 s0, s0, exec_lo
	s_or_b32 s5, s4, s0
.LBB0_20:
	s_and_saveexec_b32 s4, s5
	s_cbranch_execnz .LBB0_24
; %bb.21:
	s_or_b32 exec_lo, exec_lo, s4
	s_and_saveexec_b32 s0, s1
	s_cbranch_execz .LBB0_23
.LBB0_22:
	v_ashrrev_i32_e32 v2, 31, v7
	v_mul_lo_u32 v12, s19, v7
	v_mad_u64_u32 v[8:9], null, s18, v7, 0
	v_mul_lo_u32 v14, s27, v7
	v_mul_lo_u32 v13, s18, v2
	v_mad_u64_u32 v[10:11], null, s26, v7, 0
	v_mul_lo_u32 v2, s26, v2
	v_lshlrev_b64 v[0:1], 3, v[0:1]
	v_add3_u32 v9, v9, v13, v12
	v_add3_u32 v11, v11, v2, v14
	v_lshlrev_b64 v[7:8], 3, v[8:9]
	v_lshlrev_b64 v[9:10], 3, v[10:11]
	v_add_co_u32 v7, vcc_lo, s9, v7
	v_add_co_ci_u32_e64 v8, null, s12, v8, vcc_lo
	v_add_co_u32 v9, vcc_lo, s6, v9
	v_add_co_ci_u32_e64 v10, null, s7, v10, vcc_lo
	global_load_dwordx2 v[7:8], v[7:8], off
	s_clause 0x1
	global_load_dwordx2 v[9:10], v[9:10], off
	global_load_dwordx2 v[5:6], v[5:6], off
	;; [unrolled: 1-line block ×3, first 2 shown]
	v_add_co_u32 v0, vcc_lo, s2, v0
	v_add_co_ci_u32_e64 v1, null, s3, v1, vcc_lo
	global_load_dwordx2 v[11:12], v[0:1], off offset:512
	s_waitcnt vmcnt(4)
	v_mul_f32_e32 v4, s10, v8
	v_mul_f32_e32 v8, s11, v8
	s_waitcnt vmcnt(3)
	v_mul_f32_e32 v13, s11, v9
	v_mul_f32_e32 v14, s11, v10
	v_fmac_f32_e32 v4, s11, v7
	v_fma_f32 v7, s10, v7, -v8
	v_fma_f32 v8, s10, v10, -v13
	v_fmac_f32_e32 v14, s10, v9
	s_waitcnt vmcnt(2)
	v_mul_f32_e32 v9, v6, v4
	v_mul_f32_e32 v6, v6, v7
	s_waitcnt vmcnt(1)
	v_mul_f32_e32 v10, v3, v8
	v_mul_f32_e32 v3, v3, v14
	v_fmac_f32_e32 v9, v5, v7
	v_fma_f32 v4, v5, v4, -v6
	v_fmac_f32_e32 v10, v2, v14
	v_fma_f32 v2, v2, v8, -v3
	v_add_f32_e32 v3, v9, v10
	v_add_f32_e32 v4, v4, v2
	s_waitcnt vmcnt(0)
	v_add_f32_e32 v2, v11, v3
	v_add_f32_e32 v3, v12, v4
	global_store_dwordx2 v[0:1], v[2:3], off offset:512
.LBB0_23:
	s_endpgm
.LBB0_24:
	v_cmp_eq_u32_e32 vcc_lo, v7, v2
	v_cmp_gt_i32_e64 s0, s13, v7
	s_and_b32 s5, vcc_lo, s0
	s_and_saveexec_b32 s0, s5
	s_cbranch_execz .LBB0_26
; %bb.25:
	global_load_dwordx2 v[8:9], v[3:4], off
	global_load_dwordx2 v[10:11], v[5:6], off
	v_lshlrev_b64 v[12:13], 3, v[0:1]
	v_add_co_u32 v12, vcc_lo, s2, v12
	v_add_co_ci_u32_e64 v13, null, s3, v13, vcc_lo
	global_load_dword v2, v[12:13], off offset:512
	s_waitcnt vmcnt(2)
	v_mul_f32_e32 v14, s10, v9
	v_mul_f32_e32 v15, s11, v9
	s_waitcnt vmcnt(1)
	v_mul_f32_e32 v16, s11, v10
	v_mul_f32_e32 v17, s11, v11
	v_fmac_f32_e32 v14, s11, v8
	v_fma_f32 v15, s10, v8, -v15
	v_fma_f32 v16, s10, v11, -v16
	v_fmac_f32_e32 v17, s10, v10
	v_mul_f32_e32 v18, v11, v14
	v_mul_f32_e32 v11, v11, v15
	;; [unrolled: 1-line block ×4, first 2 shown]
	v_fmac_f32_e32 v18, v10, v15
	v_fma_f32 v10, v10, v14, -v11
	v_fmac_f32_e32 v19, v8, v17
	v_fma_f32 v9, v8, v16, -v9
	s_waitcnt vmcnt(0)
	v_add_f32_e32 v2, v2, v18
	v_add_f32_e32 v9, v10, v9
	;; [unrolled: 1-line block ×3, first 2 shown]
	global_store_dwordx2 v[12:13], v[8:9], off offset:512
.LBB0_26:
	s_or_b32 exec_lo, exec_lo, s0
	s_andn2_b32 s1, s1, exec_lo
	s_or_b32 exec_lo, exec_lo, s4
	s_and_saveexec_b32 s0, s1
	s_cbranch_execnz .LBB0_22
	s_branch .LBB0_23
	.section	.rodata,"a",@progbits
	.p2align	6, 0x0
	.amdhsa_kernel _ZL19rocblas_hpr2_kernelILi64ELi16ELi2EPK19rocblas_complex_numIfES3_PS1_EvbiT2_T3_lllS6_lllT4_lli
		.amdhsa_group_segment_fixed_size 0
		.amdhsa_private_segment_fixed_size 0
		.amdhsa_kernarg_size 108
		.amdhsa_user_sgpr_count 6
		.amdhsa_user_sgpr_private_segment_buffer 1
		.amdhsa_user_sgpr_dispatch_ptr 0
		.amdhsa_user_sgpr_queue_ptr 0
		.amdhsa_user_sgpr_kernarg_segment_ptr 1
		.amdhsa_user_sgpr_dispatch_id 0
		.amdhsa_user_sgpr_flat_scratch_init 0
		.amdhsa_user_sgpr_private_segment_size 0
		.amdhsa_wavefront_size32 1
		.amdhsa_uses_dynamic_stack 0
		.amdhsa_system_sgpr_private_segment_wavefront_offset 0
		.amdhsa_system_sgpr_workgroup_id_x 1
		.amdhsa_system_sgpr_workgroup_id_y 1
		.amdhsa_system_sgpr_workgroup_id_z 1
		.amdhsa_system_sgpr_workgroup_info 0
		.amdhsa_system_vgpr_workitem_id 1
		.amdhsa_next_free_vgpr 23
		.amdhsa_next_free_sgpr 29
		.amdhsa_reserve_vcc 1
		.amdhsa_reserve_flat_scratch 0
		.amdhsa_float_round_mode_32 0
		.amdhsa_float_round_mode_16_64 0
		.amdhsa_float_denorm_mode_32 3
		.amdhsa_float_denorm_mode_16_64 3
		.amdhsa_dx10_clamp 1
		.amdhsa_ieee_mode 1
		.amdhsa_fp16_overflow 0
		.amdhsa_workgroup_processor_mode 1
		.amdhsa_memory_ordered 1
		.amdhsa_forward_progress 1
		.amdhsa_shared_vgpr_count 0
		.amdhsa_exception_fp_ieee_invalid_op 0
		.amdhsa_exception_fp_denorm_src 0
		.amdhsa_exception_fp_ieee_div_zero 0
		.amdhsa_exception_fp_ieee_overflow 0
		.amdhsa_exception_fp_ieee_underflow 0
		.amdhsa_exception_fp_ieee_inexact 0
		.amdhsa_exception_int_div_zero 0
	.end_amdhsa_kernel
	.section	.text._ZL19rocblas_hpr2_kernelILi64ELi16ELi2EPK19rocblas_complex_numIfES3_PS1_EvbiT2_T3_lllS6_lllT4_lli,"axG",@progbits,_ZL19rocblas_hpr2_kernelILi64ELi16ELi2EPK19rocblas_complex_numIfES3_PS1_EvbiT2_T3_lllS6_lllT4_lli,comdat
.Lfunc_end0:
	.size	_ZL19rocblas_hpr2_kernelILi64ELi16ELi2EPK19rocblas_complex_numIfES3_PS1_EvbiT2_T3_lllS6_lllT4_lli, .Lfunc_end0-_ZL19rocblas_hpr2_kernelILi64ELi16ELi2EPK19rocblas_complex_numIfES3_PS1_EvbiT2_T3_lllS6_lllT4_lli
                                        ; -- End function
	.set _ZL19rocblas_hpr2_kernelILi64ELi16ELi2EPK19rocblas_complex_numIfES3_PS1_EvbiT2_T3_lllS6_lllT4_lli.num_vgpr, 23
	.set _ZL19rocblas_hpr2_kernelILi64ELi16ELi2EPK19rocblas_complex_numIfES3_PS1_EvbiT2_T3_lllS6_lllT4_lli.num_agpr, 0
	.set _ZL19rocblas_hpr2_kernelILi64ELi16ELi2EPK19rocblas_complex_numIfES3_PS1_EvbiT2_T3_lllS6_lllT4_lli.numbered_sgpr, 29
	.set _ZL19rocblas_hpr2_kernelILi64ELi16ELi2EPK19rocblas_complex_numIfES3_PS1_EvbiT2_T3_lllS6_lllT4_lli.num_named_barrier, 0
	.set _ZL19rocblas_hpr2_kernelILi64ELi16ELi2EPK19rocblas_complex_numIfES3_PS1_EvbiT2_T3_lllS6_lllT4_lli.private_seg_size, 0
	.set _ZL19rocblas_hpr2_kernelILi64ELi16ELi2EPK19rocblas_complex_numIfES3_PS1_EvbiT2_T3_lllS6_lllT4_lli.uses_vcc, 1
	.set _ZL19rocblas_hpr2_kernelILi64ELi16ELi2EPK19rocblas_complex_numIfES3_PS1_EvbiT2_T3_lllS6_lllT4_lli.uses_flat_scratch, 0
	.set _ZL19rocblas_hpr2_kernelILi64ELi16ELi2EPK19rocblas_complex_numIfES3_PS1_EvbiT2_T3_lllS6_lllT4_lli.has_dyn_sized_stack, 0
	.set _ZL19rocblas_hpr2_kernelILi64ELi16ELi2EPK19rocblas_complex_numIfES3_PS1_EvbiT2_T3_lllS6_lllT4_lli.has_recursion, 0
	.set _ZL19rocblas_hpr2_kernelILi64ELi16ELi2EPK19rocblas_complex_numIfES3_PS1_EvbiT2_T3_lllS6_lllT4_lli.has_indirect_call, 0
	.section	.AMDGPU.csdata,"",@progbits
; Kernel info:
; codeLenInByte = 1864
; TotalNumSgprs: 31
; NumVgprs: 23
; ScratchSize: 0
; MemoryBound: 0
; FloatMode: 240
; IeeeMode: 1
; LDSByteSize: 0 bytes/workgroup (compile time only)
; SGPRBlocks: 0
; VGPRBlocks: 2
; NumSGPRsForWavesPerEU: 31
; NumVGPRsForWavesPerEU: 23
; Occupancy: 16
; WaveLimiterHint : 0
; COMPUTE_PGM_RSRC2:SCRATCH_EN: 0
; COMPUTE_PGM_RSRC2:USER_SGPR: 6
; COMPUTE_PGM_RSRC2:TRAP_HANDLER: 0
; COMPUTE_PGM_RSRC2:TGID_X_EN: 1
; COMPUTE_PGM_RSRC2:TGID_Y_EN: 1
; COMPUTE_PGM_RSRC2:TGID_Z_EN: 1
; COMPUTE_PGM_RSRC2:TIDIG_COMP_CNT: 1
	.section	.text._ZL19rocblas_hpr2_kernelILi64ELi16ELi2E19rocblas_complex_numIfEPKS1_PS1_EvbiT2_T3_lllS6_lllT4_lli,"axG",@progbits,_ZL19rocblas_hpr2_kernelILi64ELi16ELi2E19rocblas_complex_numIfEPKS1_PS1_EvbiT2_T3_lllS6_lllT4_lli,comdat
	.globl	_ZL19rocblas_hpr2_kernelILi64ELi16ELi2E19rocblas_complex_numIfEPKS1_PS1_EvbiT2_T3_lllS6_lllT4_lli ; -- Begin function _ZL19rocblas_hpr2_kernelILi64ELi16ELi2E19rocblas_complex_numIfEPKS1_PS1_EvbiT2_T3_lllS6_lllT4_lli
	.p2align	8
	.type	_ZL19rocblas_hpr2_kernelILi64ELi16ELi2E19rocblas_complex_numIfEPKS1_PS1_EvbiT2_T3_lllS6_lllT4_lli,@function
_ZL19rocblas_hpr2_kernelILi64ELi16ELi2E19rocblas_complex_numIfEPKS1_PS1_EvbiT2_T3_lllS6_lllT4_lli: ; @_ZL19rocblas_hpr2_kernelILi64ELi16ELi2E19rocblas_complex_numIfEPKS1_PS1_EvbiT2_T3_lllS6_lllT4_lli
; %bb.0:
	s_load_dwordx4 s[28:31], s[4:5], 0x0
	s_waitcnt lgkmcnt(0)
	v_cmp_neq_f32_e64 s0, s30, 0
	v_cmp_neq_f32_e64 s1, s31, 0
	s_or_b32 s0, s0, s1
	s_andn2_b32 vcc_lo, exec_lo, s0
	s_cbranch_vccnz .LBB1_23
; %bb.1:
	s_bitcmp1_b32 s28, 0
	v_lshl_add_u32 v9, s6, 7, v0
	s_cselect_b32 s0, -1, 0
	v_lshl_add_u32 v2, s7, 4, v1
	s_xor_b32 s28, s0, -1
	s_mov_b32 s0, -1
	s_and_b32 vcc_lo, exec_lo, s28
                                        ; implicit-def: $vgpr0
	s_cbranch_vccz .LBB1_3
; %bb.2:
	s_lshl_b32 s0, s29, 1
	v_sub_nc_u32_e32 v0, s0, v2
	s_mov_b32 s0, 0
	v_mad_u64_u32 v[0:1], null, v2, v0, v[2:3]
	v_lshrrev_b32_e32 v1, 31, v0
	v_add_nc_u32_e32 v0, v0, v1
	v_sub_nc_u32_e32 v1, v9, v2
	v_ashrrev_i32_e32 v0, 1, v0
	v_add_nc_u32_e32 v0, v1, v0
.LBB1_3:
	s_andn2_b32 vcc_lo, exec_lo, s0
	s_cbranch_vccnz .LBB1_5
; %bb.4:
	v_mad_u64_u32 v[0:1], null, v2, v2, v[2:3]
	v_lshrrev_b32_e32 v1, 31, v0
	v_add_nc_u32_e32 v0, v0, v1
	v_ashrrev_i32_e32 v0, 1, v0
	v_add_nc_u32_e32 v0, v0, v9
.LBB1_5:
	s_clause 0x2
	s_load_dwordx16 s[12:27], s[4:5], 0x10
	s_load_dwordx2 s[2:3], s[4:5], 0x60
	s_load_dwordx4 s[4:7], s[4:5], 0x50
	v_ashrrev_i32_e32 v1, 31, v2
	v_cmp_gt_i32_e64 s0, s29, v2
	s_waitcnt lgkmcnt(0)
	s_mul_i32 s1, s19, s8
	s_mul_hi_u32 s9, s18, s8
	s_mul_i32 s10, s18, s8
	s_add_i32 s11, s9, s1
	s_mul_i32 s19, s27, s8
	s_mul_hi_u32 s27, s26, s8
	s_mul_i32 s18, s26, s8
	s_mul_i32 s3, s3, s8
	s_mul_hi_u32 s26, s2, s8
	s_mul_i32 s2, s2, s8
	s_lshl_b64 s[8:9], s[10:11], 3
	v_mul_lo_u32 v7, s25, v2
	s_add_u32 s1, s12, s8
	s_addc_u32 s10, s13, s9
	s_lshl_b64 s[8:9], s[14:15], 3
	v_mul_lo_u32 v8, s24, v1
	v_mad_u64_u32 v[3:4], null, s24, v2, 0
	v_mul_lo_u32 v10, s17, v2
	s_add_u32 s8, s1, s8
	v_mul_lo_u32 v1, s16, v1
	v_mad_u64_u32 v[5:6], null, s16, v2, 0
	s_addc_u32 s9, s10, s9
	s_add_i32 s19, s27, s19
	v_add3_u32 v4, v4, v8, v7
	s_lshl_b64 s[10:11], s[18:19], 3
	s_add_u32 s1, s20, s10
	s_addc_u32 s12, s21, s11
	s_lshl_b64 s[10:11], s[22:23], 3
	v_add3_u32 v6, v6, v1, v10
	s_add_u32 s10, s1, s10
	s_addc_u32 s11, s12, s11
	s_add_i32 s3, s26, s3
	v_lshlrev_b64 v[3:4], 3, v[3:4]
	s_lshl_b64 s[2:3], s[2:3], 3
	v_lshlrev_b64 v[7:8], 3, v[5:6]
	s_add_u32 s1, s4, s2
	s_addc_u32 s4, s5, s3
	s_lshl_b64 s[2:3], s[6:7], 3
	s_add_u32 s2, s1, s2
	s_addc_u32 s3, s4, s3
	s_and_b32 vcc_lo, exec_lo, s28
	s_cbranch_vccz .LBB1_7
; %bb.6:
	v_cmp_le_i32_e32 vcc_lo, s29, v9
	v_cmp_le_i32_e64 s1, v9, v2
	s_mov_b32 s5, 0
	s_mov_b32 s4, -1
	s_or_b32 s1, s1, vcc_lo
	s_and_b32 s1, s1, exec_lo
	s_branch .LBB1_8
.LBB1_7:
	s_mov_b32 s5, -1
	s_mov_b32 s1, 0
	s_mov_b32 s4, 0
.LBB1_8:
	v_add_co_u32 v5, vcc_lo, s10, v3
	v_add_co_ci_u32_e64 v6, null, s11, v4, vcc_lo
	v_add_co_u32 v3, vcc_lo, s8, v7
	v_add_co_ci_u32_e64 v4, null, s9, v8, vcc_lo
	s_andn2_b32 vcc_lo, exec_lo, s5
	s_cbranch_vccz .LBB1_14
; %bb.9:
	s_and_saveexec_b32 s5, s1
	s_xor_b32 s5, exec_lo, s5
	s_cbranch_execnz .LBB1_15
.LBB1_10:
	s_or_b32 exec_lo, exec_lo, s5
	v_ashrrev_i32_e32 v1, 31, v0
	s_and_saveexec_b32 s1, s4
	s_cbranch_execz .LBB1_12
.LBB1_11:
	v_ashrrev_i32_e32 v12, 31, v9
	v_mul_lo_u32 v13, s17, v9
	v_mad_u64_u32 v[7:8], null, s16, v9, 0
	v_mul_lo_u32 v15, s25, v9
	v_mul_lo_u32 v14, s16, v12
	v_mad_u64_u32 v[10:11], null, s24, v9, 0
	v_mul_lo_u32 v12, s24, v12
	v_lshlrev_b64 v[16:17], 3, v[0:1]
	v_add3_u32 v8, v8, v14, v13
	v_add3_u32 v11, v11, v12, v15
	v_lshlrev_b64 v[7:8], 3, v[7:8]
	v_lshlrev_b64 v[10:11], 3, v[10:11]
	v_add_co_u32 v7, vcc_lo, s8, v7
	v_add_co_ci_u32_e64 v8, null, s9, v8, vcc_lo
	v_add_co_u32 v10, vcc_lo, s10, v10
	v_add_co_ci_u32_e64 v11, null, s11, v11, vcc_lo
	global_load_dwordx2 v[7:8], v[7:8], off
	s_clause 0x1
	global_load_dwordx2 v[10:11], v[10:11], off
	global_load_dwordx2 v[12:13], v[5:6], off
	;; [unrolled: 1-line block ×3, first 2 shown]
	v_add_co_u32 v16, vcc_lo, s2, v16
	v_add_co_ci_u32_e64 v17, null, s3, v17, vcc_lo
	global_load_dwordx2 v[18:19], v[16:17], off
	s_waitcnt vmcnt(4)
	v_mul_f32_e32 v20, s30, v8
	v_mul_f32_e32 v8, s31, v8
	s_waitcnt vmcnt(3)
	v_mul_f32_e32 v21, s31, v10
	v_mul_f32_e32 v22, s31, v11
	v_fmac_f32_e32 v20, s31, v7
	v_fma_f32 v7, s30, v7, -v8
	v_fma_f32 v8, s30, v11, -v21
	v_fmac_f32_e32 v22, s30, v10
	s_waitcnt vmcnt(2)
	v_mul_f32_e32 v10, v13, v20
	v_mul_f32_e32 v11, v13, v7
	s_waitcnt vmcnt(1)
	v_mul_f32_e32 v13, v15, v8
	v_mul_f32_e32 v15, v15, v22
	v_fmac_f32_e32 v10, v12, v7
	v_fma_f32 v7, v12, v20, -v11
	v_fmac_f32_e32 v13, v14, v22
	v_fma_f32 v8, v14, v8, -v15
	v_add_f32_e32 v10, v10, v13
	v_add_f32_e32 v8, v7, v8
	s_waitcnt vmcnt(0)
	v_add_f32_e32 v7, v18, v10
	v_add_f32_e32 v8, v19, v8
	global_store_dwordx2 v[16:17], v[7:8], off
.LBB1_12:
	s_or_b32 exec_lo, exec_lo, s1
	v_add_nc_u32_e32 v7, 64, v9
	s_andn2_b32 vcc_lo, exec_lo, s28
	v_cmp_gt_i32_e64 s1, s29, v7
	s_cbranch_vccnz .LBB1_18
; %bb.13:
	v_cmp_lt_i32_e32 vcc_lo, v2, v7
	s_and_b32 s1, s1, vcc_lo
	s_xor_b32 s5, s1, -1
	s_and_b32 s1, s1, exec_lo
	s_and_b32 s5, s5, exec_lo
	s_cbranch_execz .LBB1_19
	s_branch .LBB1_20
.LBB1_14:
	v_cmp_lt_i32_e32 vcc_lo, v9, v2
	s_andn2_b32 s4, s4, exec_lo
	s_andn2_b32 s1, s1, exec_lo
	s_and_b32 s5, vcc_lo, s0
	s_xor_b32 s6, s5, -1
	s_and_b32 s5, s5, exec_lo
	s_and_b32 s6, s6, exec_lo
	s_or_b32 s4, s4, s5
	s_or_b32 s1, s1, s6
	s_and_saveexec_b32 s5, s1
	s_xor_b32 s5, exec_lo, s5
	s_cbranch_execz .LBB1_10
.LBB1_15:
	v_cmp_eq_u32_e32 vcc_lo, v9, v2
	v_cmp_gt_i32_e64 s1, s29, v9
	s_and_b32 s6, vcc_lo, s1
	s_and_saveexec_b32 s1, s6
	s_cbranch_execz .LBB1_17
; %bb.16:
	v_ashrrev_i32_e32 v1, 31, v9
	v_mul_lo_u32 v12, s17, v9
	v_mad_u64_u32 v[7:8], null, s16, v9, 0
	v_mul_lo_u32 v14, s25, v9
	v_mul_lo_u32 v13, s16, v1
	v_mad_u64_u32 v[10:11], null, s24, v9, 0
	v_mul_lo_u32 v1, s24, v1
	v_add3_u32 v8, v8, v13, v12
	v_add3_u32 v11, v11, v1, v14
	v_ashrrev_i32_e32 v1, 31, v0
	v_lshlrev_b64 v[7:8], 3, v[7:8]
	v_lshlrev_b64 v[10:11], 3, v[10:11]
	;; [unrolled: 1-line block ×3, first 2 shown]
	v_add_co_u32 v7, vcc_lo, s8, v7
	v_add_co_ci_u32_e64 v8, null, s9, v8, vcc_lo
	v_add_co_u32 v10, vcc_lo, s10, v10
	v_add_co_ci_u32_e64 v11, null, s11, v11, vcc_lo
	global_load_dwordx2 v[7:8], v[7:8], off
	v_add_co_u32 v12, vcc_lo, s2, v12
	s_clause 0x1
	global_load_dwordx2 v[10:11], v[10:11], off
	global_load_dwordx2 v[14:15], v[5:6], off
	;; [unrolled: 1-line block ×3, first 2 shown]
	v_add_co_ci_u32_e64 v13, null, s3, v13, vcc_lo
	global_load_dword v1, v[12:13], off
	s_waitcnt vmcnt(4)
	v_mul_f32_e32 v18, s30, v8
	v_mul_f32_e32 v8, s31, v8
	s_waitcnt vmcnt(3)
	v_mul_f32_e32 v19, s31, v10
	v_mul_f32_e32 v20, s31, v11
	v_fmac_f32_e32 v18, s31, v7
	v_fma_f32 v7, s30, v7, -v8
	v_fma_f32 v8, s30, v11, -v19
	v_fmac_f32_e32 v20, s30, v10
	s_waitcnt vmcnt(2)
	v_mul_f32_e32 v11, v15, v18
	v_mul_f32_e32 v10, v15, v7
	s_waitcnt vmcnt(1)
	v_mul_f32_e32 v15, v17, v8
	v_fmac_f32_e32 v11, v14, v7
	v_mul_f32_e32 v7, v17, v20
	v_fma_f32 v10, v14, v18, -v10
	v_fmac_f32_e32 v15, v16, v20
	s_waitcnt vmcnt(0)
	v_add_f32_e32 v1, v1, v11
	v_fma_f32 v8, v16, v8, -v7
	v_add_f32_e32 v7, v1, v15
	v_add_f32_e32 v8, v10, v8
	global_store_dwordx2 v[12:13], v[7:8], off
.LBB1_17:
	s_or_b32 exec_lo, exec_lo, s1
	s_andn2_b32 s4, s4, exec_lo
	s_or_b32 exec_lo, exec_lo, s5
	v_ashrrev_i32_e32 v1, 31, v0
	s_and_saveexec_b32 s1, s4
	s_cbranch_execnz .LBB1_11
	s_branch .LBB1_12
.LBB1_18:
	s_mov_b32 s5, 0
	s_mov_b32 s1, 0
.LBB1_19:
	v_cmp_ge_i32_e32 vcc_lo, v7, v2
	s_xor_b32 s0, s0, -1
	s_andn2_b32 s4, s5, exec_lo
	s_or_b32 s1, s1, exec_lo
	s_or_b32 s0, s0, vcc_lo
	s_and_b32 s0, s0, exec_lo
	s_or_b32 s5, s4, s0
.LBB1_20:
	s_and_saveexec_b32 s4, s5
	s_cbranch_execnz .LBB1_24
; %bb.21:
	s_or_b32 exec_lo, exec_lo, s4
	s_and_saveexec_b32 s0, s1
	s_cbranch_execz .LBB1_23
.LBB1_22:
	v_ashrrev_i32_e32 v2, 31, v7
	v_mul_lo_u32 v12, s17, v7
	v_mad_u64_u32 v[8:9], null, s16, v7, 0
	v_mul_lo_u32 v14, s25, v7
	v_mul_lo_u32 v13, s16, v2
	v_mad_u64_u32 v[10:11], null, s24, v7, 0
	v_mul_lo_u32 v2, s24, v2
	v_lshlrev_b64 v[0:1], 3, v[0:1]
	v_add3_u32 v9, v9, v13, v12
	v_add3_u32 v11, v11, v2, v14
	v_lshlrev_b64 v[7:8], 3, v[8:9]
	v_lshlrev_b64 v[9:10], 3, v[10:11]
	v_add_co_u32 v7, vcc_lo, s8, v7
	v_add_co_ci_u32_e64 v8, null, s9, v8, vcc_lo
	v_add_co_u32 v9, vcc_lo, s10, v9
	v_add_co_ci_u32_e64 v10, null, s11, v10, vcc_lo
	global_load_dwordx2 v[7:8], v[7:8], off
	s_clause 0x1
	global_load_dwordx2 v[9:10], v[9:10], off
	global_load_dwordx2 v[5:6], v[5:6], off
	;; [unrolled: 1-line block ×3, first 2 shown]
	v_add_co_u32 v0, vcc_lo, s2, v0
	v_add_co_ci_u32_e64 v1, null, s3, v1, vcc_lo
	global_load_dwordx2 v[11:12], v[0:1], off offset:512
	s_waitcnt vmcnt(4)
	v_mul_f32_e32 v4, s30, v8
	v_mul_f32_e32 v8, s31, v8
	s_waitcnt vmcnt(3)
	v_mul_f32_e32 v13, s31, v9
	v_mul_f32_e32 v14, s31, v10
	v_fmac_f32_e32 v4, s31, v7
	v_fma_f32 v7, s30, v7, -v8
	v_fma_f32 v8, s30, v10, -v13
	v_fmac_f32_e32 v14, s30, v9
	s_waitcnt vmcnt(2)
	v_mul_f32_e32 v9, v6, v4
	v_mul_f32_e32 v6, v6, v7
	s_waitcnt vmcnt(1)
	v_mul_f32_e32 v10, v3, v8
	v_mul_f32_e32 v3, v3, v14
	v_fmac_f32_e32 v9, v5, v7
	v_fma_f32 v4, v5, v4, -v6
	v_fmac_f32_e32 v10, v2, v14
	v_fma_f32 v2, v2, v8, -v3
	v_add_f32_e32 v3, v9, v10
	v_add_f32_e32 v4, v4, v2
	s_waitcnt vmcnt(0)
	v_add_f32_e32 v2, v11, v3
	v_add_f32_e32 v3, v12, v4
	global_store_dwordx2 v[0:1], v[2:3], off offset:512
.LBB1_23:
	s_endpgm
.LBB1_24:
	v_cmp_eq_u32_e32 vcc_lo, v7, v2
	v_cmp_gt_i32_e64 s0, s29, v7
	s_and_b32 s5, vcc_lo, s0
	s_and_saveexec_b32 s0, s5
	s_cbranch_execz .LBB1_26
; %bb.25:
	global_load_dwordx2 v[8:9], v[3:4], off
	global_load_dwordx2 v[10:11], v[5:6], off
	v_lshlrev_b64 v[12:13], 3, v[0:1]
	v_add_co_u32 v12, vcc_lo, s2, v12
	v_add_co_ci_u32_e64 v13, null, s3, v13, vcc_lo
	global_load_dword v2, v[12:13], off offset:512
	s_waitcnt vmcnt(2)
	v_mul_f32_e32 v14, s30, v9
	v_mul_f32_e32 v15, s31, v9
	s_waitcnt vmcnt(1)
	v_mul_f32_e32 v16, s31, v10
	v_mul_f32_e32 v17, s31, v11
	v_fmac_f32_e32 v14, s31, v8
	v_fma_f32 v15, s30, v8, -v15
	v_fma_f32 v16, s30, v11, -v16
	v_fmac_f32_e32 v17, s30, v10
	v_mul_f32_e32 v18, v11, v14
	v_mul_f32_e32 v11, v11, v15
	;; [unrolled: 1-line block ×4, first 2 shown]
	v_fmac_f32_e32 v18, v10, v15
	v_fma_f32 v10, v10, v14, -v11
	v_fmac_f32_e32 v19, v8, v17
	v_fma_f32 v9, v8, v16, -v9
	s_waitcnt vmcnt(0)
	v_add_f32_e32 v2, v2, v18
	v_add_f32_e32 v9, v10, v9
	;; [unrolled: 1-line block ×3, first 2 shown]
	global_store_dwordx2 v[12:13], v[8:9], off offset:512
.LBB1_26:
	s_or_b32 exec_lo, exec_lo, s0
	s_andn2_b32 s1, s1, exec_lo
	s_or_b32 exec_lo, exec_lo, s4
	s_and_saveexec_b32 s0, s1
	s_cbranch_execnz .LBB1_22
	s_branch .LBB1_23
	.section	.rodata,"a",@progbits
	.p2align	6, 0x0
	.amdhsa_kernel _ZL19rocblas_hpr2_kernelILi64ELi16ELi2E19rocblas_complex_numIfEPKS1_PS1_EvbiT2_T3_lllS6_lllT4_lli
		.amdhsa_group_segment_fixed_size 0
		.amdhsa_private_segment_fixed_size 0
		.amdhsa_kernarg_size 108
		.amdhsa_user_sgpr_count 6
		.amdhsa_user_sgpr_private_segment_buffer 1
		.amdhsa_user_sgpr_dispatch_ptr 0
		.amdhsa_user_sgpr_queue_ptr 0
		.amdhsa_user_sgpr_kernarg_segment_ptr 1
		.amdhsa_user_sgpr_dispatch_id 0
		.amdhsa_user_sgpr_flat_scratch_init 0
		.amdhsa_user_sgpr_private_segment_size 0
		.amdhsa_wavefront_size32 1
		.amdhsa_uses_dynamic_stack 0
		.amdhsa_system_sgpr_private_segment_wavefront_offset 0
		.amdhsa_system_sgpr_workgroup_id_x 1
		.amdhsa_system_sgpr_workgroup_id_y 1
		.amdhsa_system_sgpr_workgroup_id_z 1
		.amdhsa_system_sgpr_workgroup_info 0
		.amdhsa_system_vgpr_workitem_id 1
		.amdhsa_next_free_vgpr 23
		.amdhsa_next_free_sgpr 32
		.amdhsa_reserve_vcc 1
		.amdhsa_reserve_flat_scratch 0
		.amdhsa_float_round_mode_32 0
		.amdhsa_float_round_mode_16_64 0
		.amdhsa_float_denorm_mode_32 3
		.amdhsa_float_denorm_mode_16_64 3
		.amdhsa_dx10_clamp 1
		.amdhsa_ieee_mode 1
		.amdhsa_fp16_overflow 0
		.amdhsa_workgroup_processor_mode 1
		.amdhsa_memory_ordered 1
		.amdhsa_forward_progress 1
		.amdhsa_shared_vgpr_count 0
		.amdhsa_exception_fp_ieee_invalid_op 0
		.amdhsa_exception_fp_denorm_src 0
		.amdhsa_exception_fp_ieee_div_zero 0
		.amdhsa_exception_fp_ieee_overflow 0
		.amdhsa_exception_fp_ieee_underflow 0
		.amdhsa_exception_fp_ieee_inexact 0
		.amdhsa_exception_int_div_zero 0
	.end_amdhsa_kernel
	.section	.text._ZL19rocblas_hpr2_kernelILi64ELi16ELi2E19rocblas_complex_numIfEPKS1_PS1_EvbiT2_T3_lllS6_lllT4_lli,"axG",@progbits,_ZL19rocblas_hpr2_kernelILi64ELi16ELi2E19rocblas_complex_numIfEPKS1_PS1_EvbiT2_T3_lllS6_lllT4_lli,comdat
.Lfunc_end1:
	.size	_ZL19rocblas_hpr2_kernelILi64ELi16ELi2E19rocblas_complex_numIfEPKS1_PS1_EvbiT2_T3_lllS6_lllT4_lli, .Lfunc_end1-_ZL19rocblas_hpr2_kernelILi64ELi16ELi2E19rocblas_complex_numIfEPKS1_PS1_EvbiT2_T3_lllS6_lllT4_lli
                                        ; -- End function
	.set _ZL19rocblas_hpr2_kernelILi64ELi16ELi2E19rocblas_complex_numIfEPKS1_PS1_EvbiT2_T3_lllS6_lllT4_lli.num_vgpr, 23
	.set _ZL19rocblas_hpr2_kernelILi64ELi16ELi2E19rocblas_complex_numIfEPKS1_PS1_EvbiT2_T3_lllS6_lllT4_lli.num_agpr, 0
	.set _ZL19rocblas_hpr2_kernelILi64ELi16ELi2E19rocblas_complex_numIfEPKS1_PS1_EvbiT2_T3_lllS6_lllT4_lli.numbered_sgpr, 32
	.set _ZL19rocblas_hpr2_kernelILi64ELi16ELi2E19rocblas_complex_numIfEPKS1_PS1_EvbiT2_T3_lllS6_lllT4_lli.num_named_barrier, 0
	.set _ZL19rocblas_hpr2_kernelILi64ELi16ELi2E19rocblas_complex_numIfEPKS1_PS1_EvbiT2_T3_lllS6_lllT4_lli.private_seg_size, 0
	.set _ZL19rocblas_hpr2_kernelILi64ELi16ELi2E19rocblas_complex_numIfEPKS1_PS1_EvbiT2_T3_lllS6_lllT4_lli.uses_vcc, 1
	.set _ZL19rocblas_hpr2_kernelILi64ELi16ELi2E19rocblas_complex_numIfEPKS1_PS1_EvbiT2_T3_lllS6_lllT4_lli.uses_flat_scratch, 0
	.set _ZL19rocblas_hpr2_kernelILi64ELi16ELi2E19rocblas_complex_numIfEPKS1_PS1_EvbiT2_T3_lllS6_lllT4_lli.has_dyn_sized_stack, 0
	.set _ZL19rocblas_hpr2_kernelILi64ELi16ELi2E19rocblas_complex_numIfEPKS1_PS1_EvbiT2_T3_lllS6_lllT4_lli.has_recursion, 0
	.set _ZL19rocblas_hpr2_kernelILi64ELi16ELi2E19rocblas_complex_numIfEPKS1_PS1_EvbiT2_T3_lllS6_lllT4_lli.has_indirect_call, 0
	.section	.AMDGPU.csdata,"",@progbits
; Kernel info:
; codeLenInByte = 1860
; TotalNumSgprs: 34
; NumVgprs: 23
; ScratchSize: 0
; MemoryBound: 0
; FloatMode: 240
; IeeeMode: 1
; LDSByteSize: 0 bytes/workgroup (compile time only)
; SGPRBlocks: 0
; VGPRBlocks: 2
; NumSGPRsForWavesPerEU: 34
; NumVGPRsForWavesPerEU: 23
; Occupancy: 16
; WaveLimiterHint : 0
; COMPUTE_PGM_RSRC2:SCRATCH_EN: 0
; COMPUTE_PGM_RSRC2:USER_SGPR: 6
; COMPUTE_PGM_RSRC2:TRAP_HANDLER: 0
; COMPUTE_PGM_RSRC2:TGID_X_EN: 1
; COMPUTE_PGM_RSRC2:TGID_Y_EN: 1
; COMPUTE_PGM_RSRC2:TGID_Z_EN: 1
; COMPUTE_PGM_RSRC2:TIDIG_COMP_CNT: 1
	.section	.text._ZL19rocblas_hpr2_kernelILi64ELi16ELi2EPK19rocblas_complex_numIdES3_PS1_EvbiT2_T3_lllS6_lllT4_lli,"axG",@progbits,_ZL19rocblas_hpr2_kernelILi64ELi16ELi2EPK19rocblas_complex_numIdES3_PS1_EvbiT2_T3_lllS6_lllT4_lli,comdat
	.globl	_ZL19rocblas_hpr2_kernelILi64ELi16ELi2EPK19rocblas_complex_numIdES3_PS1_EvbiT2_T3_lllS6_lllT4_lli ; -- Begin function _ZL19rocblas_hpr2_kernelILi64ELi16ELi2EPK19rocblas_complex_numIdES3_PS1_EvbiT2_T3_lllS6_lllT4_lli
	.p2align	8
	.type	_ZL19rocblas_hpr2_kernelILi64ELi16ELi2EPK19rocblas_complex_numIdES3_PS1_EvbiT2_T3_lllS6_lllT4_lli,@function
_ZL19rocblas_hpr2_kernelILi64ELi16ELi2EPK19rocblas_complex_numIdES3_PS1_EvbiT2_T3_lllS6_lllT4_lli: ; @_ZL19rocblas_hpr2_kernelILi64ELi16ELi2EPK19rocblas_complex_numIdES3_PS1_EvbiT2_T3_lllS6_lllT4_lli
; %bb.0:
	s_load_dwordx16 s[12:27], s[4:5], 0x8
	s_waitcnt lgkmcnt(0)
	s_load_dwordx4 s[28:31], s[12:13], 0x0
	s_waitcnt lgkmcnt(0)
	v_cmp_neq_f64_e64 s0, s[28:29], 0
	v_cmp_neq_f64_e64 s1, s[30:31], 0
	s_or_b32 s0, s0, s1
	s_andn2_b32 vcc_lo, exec_lo, s0
	s_cbranch_vccnz .LBB2_23
; %bb.1:
	s_load_dwordx2 s[10:11], s[4:5], 0x0
	v_lshl_add_u32 v9, s6, 7, v0
	v_lshl_add_u32 v2, s7, 4, v1
                                        ; implicit-def: $vgpr0
	s_waitcnt lgkmcnt(0)
	s_bitcmp1_b32 s10, 0
	s_cselect_b32 s0, -1, 0
	s_xor_b32 s12, s0, -1
	s_mov_b32 s0, -1
	s_and_b32 vcc_lo, exec_lo, s12
	s_cbranch_vccz .LBB2_3
; %bb.2:
	s_lshl_b32 s0, s11, 1
	v_sub_nc_u32_e32 v0, s0, v2
	s_mov_b32 s0, 0
	v_mad_u64_u32 v[0:1], null, v2, v0, v[2:3]
	v_lshrrev_b32_e32 v1, 31, v0
	v_add_nc_u32_e32 v0, v0, v1
	v_sub_nc_u32_e32 v1, v9, v2
	v_ashrrev_i32_e32 v0, 1, v0
	v_add_nc_u32_e32 v0, v1, v0
.LBB2_3:
	s_andn2_b32 vcc_lo, exec_lo, s0
	s_cbranch_vccnz .LBB2_5
; %bb.4:
	v_mad_u64_u32 v[0:1], null, v2, v2, v[2:3]
	v_lshrrev_b32_e32 v1, 31, v0
	v_add_nc_u32_e32 v0, v0, v1
	v_ashrrev_i32_e32 v0, 1, v0
	v_add_nc_u32_e32 v0, v0, v9
.LBB2_5:
	s_load_dwordx8 s[0:7], s[4:5], 0x48
	s_mul_i32 s9, s21, s8
	s_mul_hi_u32 s10, s20, s8
	s_mul_i32 s20, s20, s8
	s_add_i32 s21, s10, s9
	v_ashrrev_i32_e32 v1, 31, v2
	s_lshl_b64 s[20:21], s[20:21], 4
	v_mul_lo_u32 v7, s27, v2
	s_add_u32 s9, s14, s20
	s_addc_u32 s10, s15, s21
	s_lshl_b64 s[14:15], s[16:17], 4
	v_mad_u64_u32 v[3:4], null, s26, v2, 0
	s_add_u32 s9, s9, s14
	s_addc_u32 s10, s10, s15
	v_mul_lo_u32 v8, s19, v2
	v_mul_lo_u32 v10, s26, v1
	;; [unrolled: 1-line block ×3, first 2 shown]
	v_mad_u64_u32 v[5:6], null, s18, v2, 0
	s_waitcnt lgkmcnt(0)
	s_mul_i32 s1, s1, s8
	s_mul_hi_u32 s13, s0, s8
	s_mul_i32 s0, s0, s8
	s_add_i32 s1, s13, s1
	s_mul_i32 s13, s7, s8
	s_lshl_b64 s[0:1], s[0:1], 4
	s_mul_hi_u32 s15, s6, s8
	s_add_u32 s7, s22, s0
	s_addc_u32 s16, s23, s1
	s_lshl_b64 s[0:1], s[24:25], 4
	s_mul_i32 s14, s6, s8
	s_add_u32 s6, s7, s0
	s_addc_u32 s7, s16, s1
	s_add_i32 s15, s15, s13
	v_add3_u32 v4, v4, v10, v7
	v_add3_u32 v6, v6, v1, v8
	s_lshl_b64 s[0:1], s[14:15], 4
	s_add_u32 s2, s2, s0
	s_addc_u32 s3, s3, s1
	s_lshl_b64 s[0:1], s[4:5], 4
	v_lshlrev_b64 v[3:4], 4, v[3:4]
	v_lshlrev_b64 v[7:8], 4, v[5:6]
	s_add_u32 s2, s2, s0
	v_cmp_gt_i32_e64 s0, s11, v2
	s_addc_u32 s3, s3, s1
	s_and_b32 vcc_lo, exec_lo, s12
	s_cbranch_vccz .LBB2_7
; %bb.6:
	v_cmp_le_i32_e32 vcc_lo, s11, v9
	v_cmp_le_i32_e64 s1, v9, v2
	s_mov_b32 s5, 0
	s_mov_b32 s4, -1
	s_or_b32 s1, s1, vcc_lo
	s_and_b32 s1, s1, exec_lo
	s_branch .LBB2_8
.LBB2_7:
	s_mov_b32 s5, -1
	s_mov_b32 s1, 0
	s_mov_b32 s4, 0
.LBB2_8:
	v_add_co_u32 v5, vcc_lo, s6, v3
	v_add_co_ci_u32_e64 v6, null, s7, v4, vcc_lo
	v_add_co_u32 v3, vcc_lo, s9, v7
	v_add_co_ci_u32_e64 v4, null, s10, v8, vcc_lo
	s_andn2_b32 vcc_lo, exec_lo, s5
	s_cbranch_vccz .LBB2_14
; %bb.9:
	s_and_saveexec_b32 s5, s1
	s_xor_b32 s5, exec_lo, s5
	s_cbranch_execnz .LBB2_15
.LBB2_10:
	s_or_b32 exec_lo, exec_lo, s5
	v_ashrrev_i32_e32 v1, 31, v0
	s_and_saveexec_b32 s1, s4
	s_cbranch_execz .LBB2_12
.LBB2_11:
	v_ashrrev_i32_e32 v12, 31, v9
	v_mul_lo_u32 v13, s19, v9
	v_mad_u64_u32 v[7:8], null, s18, v9, 0
	v_mul_lo_u32 v15, s27, v9
	v_mul_lo_u32 v14, s18, v12
	v_mad_u64_u32 v[10:11], null, s26, v9, 0
	v_mul_lo_u32 v12, s26, v12
	v_add3_u32 v8, v8, v14, v13
	v_add3_u32 v11, v11, v12, v15
	v_lshlrev_b64 v[7:8], 4, v[7:8]
	v_lshlrev_b64 v[10:11], 4, v[10:11]
	v_add_co_u32 v7, vcc_lo, s9, v7
	v_add_co_ci_u32_e64 v8, null, s10, v8, vcc_lo
	v_add_co_u32 v14, vcc_lo, s6, v10
	v_add_co_ci_u32_e64 v15, null, s7, v11, vcc_lo
	global_load_dwordx4 v[10:13], v[7:8], off
	s_clause 0x1
	global_load_dwordx4 v[14:17], v[14:15], off
	global_load_dwordx4 v[18:21], v[5:6], off
	;; [unrolled: 1-line block ×3, first 2 shown]
	v_lshlrev_b64 v[7:8], 4, v[0:1]
	v_add_co_u32 v7, vcc_lo, s2, v7
	v_add_co_ci_u32_e64 v8, null, s3, v8, vcc_lo
	global_load_dwordx4 v[26:29], v[7:8], off
	s_waitcnt vmcnt(4)
	v_mul_f64 v[30:31], s[28:29], v[12:13]
	v_mul_f64 v[12:13], s[30:31], v[12:13]
	s_waitcnt vmcnt(3)
	v_mul_f64 v[32:33], s[30:31], v[14:15]
	v_mul_f64 v[34:35], s[30:31], v[16:17]
	v_fma_f64 v[30:31], s[30:31], v[10:11], v[30:31]
	v_fma_f64 v[10:11], s[28:29], v[10:11], -v[12:13]
	v_fma_f64 v[12:13], s[28:29], v[16:17], -v[32:33]
	v_fma_f64 v[14:15], s[28:29], v[14:15], v[34:35]
	s_waitcnt vmcnt(2)
	v_mul_f64 v[16:17], v[20:21], v[30:31]
	v_mul_f64 v[20:21], v[20:21], v[10:11]
	s_waitcnt vmcnt(1)
	v_mul_f64 v[32:33], v[24:25], v[12:13]
	v_mul_f64 v[24:25], v[24:25], v[14:15]
	v_fma_f64 v[10:11], v[18:19], v[10:11], v[16:17]
	v_fma_f64 v[16:17], v[18:19], v[30:31], -v[20:21]
	v_fma_f64 v[14:15], v[22:23], v[14:15], v[32:33]
	v_fma_f64 v[12:13], v[22:23], v[12:13], -v[24:25]
	v_add_f64 v[10:11], v[10:11], v[14:15]
	v_add_f64 v[12:13], v[16:17], v[12:13]
	s_waitcnt vmcnt(0)
	v_add_f64 v[10:11], v[26:27], v[10:11]
	v_add_f64 v[12:13], v[28:29], v[12:13]
	global_store_dwordx4 v[7:8], v[10:13], off
.LBB2_12:
	s_or_b32 exec_lo, exec_lo, s1
	v_add_nc_u32_e32 v7, 64, v9
	s_andn2_b32 vcc_lo, exec_lo, s12
	v_cmp_gt_i32_e64 s1, s11, v7
	s_cbranch_vccnz .LBB2_18
; %bb.13:
	v_cmp_lt_i32_e32 vcc_lo, v2, v7
	s_and_b32 s1, s1, vcc_lo
	s_xor_b32 s5, s1, -1
	s_and_b32 s1, s1, exec_lo
	s_and_b32 s5, s5, exec_lo
	s_cbranch_execz .LBB2_19
	s_branch .LBB2_20
.LBB2_14:
	v_cmp_lt_i32_e32 vcc_lo, v9, v2
	s_andn2_b32 s4, s4, exec_lo
	s_andn2_b32 s1, s1, exec_lo
	s_and_b32 s5, vcc_lo, s0
	s_xor_b32 s8, s5, -1
	s_and_b32 s5, s5, exec_lo
	s_and_b32 s8, s8, exec_lo
	s_or_b32 s4, s4, s5
	s_or_b32 s1, s1, s8
	s_and_saveexec_b32 s5, s1
	s_xor_b32 s5, exec_lo, s5
	s_cbranch_execz .LBB2_10
.LBB2_15:
	v_cmp_eq_u32_e32 vcc_lo, v9, v2
	v_cmp_gt_i32_e64 s1, s11, v9
	s_and_b32 s8, vcc_lo, s1
	s_and_saveexec_b32 s1, s8
	s_cbranch_execz .LBB2_17
; %bb.16:
	v_ashrrev_i32_e32 v1, 31, v9
	v_mul_lo_u32 v10, s19, v9
	v_mad_u64_u32 v[7:8], null, s18, v9, 0
	v_mul_lo_u32 v16, s27, v9
	v_mul_lo_u32 v11, s18, v1
	v_mad_u64_u32 v[14:15], null, s26, v9, 0
	v_mul_lo_u32 v1, s26, v1
	v_add3_u32 v8, v8, v11, v10
	v_add3_u32 v15, v15, v1, v16
	v_ashrrev_i32_e32 v1, 31, v0
	v_lshlrev_b64 v[7:8], 4, v[7:8]
	v_add_co_u32 v7, vcc_lo, s9, v7
	v_add_co_ci_u32_e64 v8, null, s10, v8, vcc_lo
	global_load_dwordx4 v[10:13], v[7:8], off
	v_lshlrev_b64 v[7:8], 4, v[14:15]
	v_add_co_u32 v7, vcc_lo, s6, v7
	v_add_co_ci_u32_e64 v8, null, s7, v8, vcc_lo
	s_clause 0x1
	global_load_dwordx4 v[14:17], v[7:8], off
	global_load_dwordx4 v[18:21], v[5:6], off
	;; [unrolled: 1-line block ×3, first 2 shown]
	v_lshlrev_b64 v[7:8], 4, v[0:1]
	v_add_co_u32 v7, vcc_lo, s2, v7
	v_add_co_ci_u32_e64 v8, null, s3, v8, vcc_lo
	global_load_dwordx2 v[26:27], v[7:8], off
	s_waitcnt vmcnt(4)
	v_mul_f64 v[28:29], s[28:29], v[12:13]
	v_mul_f64 v[12:13], s[30:31], v[12:13]
	s_waitcnt vmcnt(3)
	v_mul_f64 v[30:31], s[30:31], v[14:15]
	v_mul_f64 v[32:33], s[30:31], v[16:17]
	v_fma_f64 v[28:29], s[30:31], v[10:11], v[28:29]
	v_fma_f64 v[10:11], s[28:29], v[10:11], -v[12:13]
	v_fma_f64 v[12:13], s[28:29], v[16:17], -v[30:31]
	v_fma_f64 v[14:15], s[28:29], v[14:15], v[32:33]
	s_waitcnt vmcnt(2)
	v_mul_f64 v[16:17], v[20:21], v[28:29]
	v_mul_f64 v[20:21], v[20:21], v[10:11]
	s_waitcnt vmcnt(1)
	v_mul_f64 v[30:31], v[24:25], v[12:13]
	v_fma_f64 v[10:11], v[18:19], v[10:11], v[16:17]
	v_mul_f64 v[16:17], v[24:25], v[14:15]
	v_fma_f64 v[18:19], v[18:19], v[28:29], -v[20:21]
	v_fma_f64 v[14:15], v[22:23], v[14:15], v[30:31]
	s_waitcnt vmcnt(0)
	v_add_f64 v[10:11], v[26:27], v[10:11]
	v_fma_f64 v[12:13], v[22:23], v[12:13], -v[16:17]
	v_add_f64 v[10:11], v[10:11], v[14:15]
	v_add_f64 v[12:13], v[18:19], v[12:13]
	global_store_dwordx4 v[7:8], v[10:13], off
.LBB2_17:
	s_or_b32 exec_lo, exec_lo, s1
	s_andn2_b32 s4, s4, exec_lo
	s_or_b32 exec_lo, exec_lo, s5
	v_ashrrev_i32_e32 v1, 31, v0
	s_and_saveexec_b32 s1, s4
	s_cbranch_execnz .LBB2_11
	s_branch .LBB2_12
.LBB2_18:
	s_mov_b32 s5, 0
	s_mov_b32 s1, 0
.LBB2_19:
	v_cmp_ge_i32_e32 vcc_lo, v7, v2
	s_xor_b32 s0, s0, -1
	s_andn2_b32 s4, s5, exec_lo
	s_or_b32 s1, s1, exec_lo
	s_or_b32 s0, s0, vcc_lo
	s_and_b32 s0, s0, exec_lo
	s_or_b32 s5, s4, s0
.LBB2_20:
	s_and_saveexec_b32 s4, s5
	s_cbranch_execnz .LBB2_24
; %bb.21:
	s_or_b32 exec_lo, exec_lo, s4
	s_and_saveexec_b32 s0, s1
	s_cbranch_execz .LBB2_23
.LBB2_22:
	v_ashrrev_i32_e32 v2, 31, v7
	v_mul_lo_u32 v12, s19, v7
	v_mad_u64_u32 v[8:9], null, s18, v7, 0
	v_mul_lo_u32 v14, s27, v7
	v_mul_lo_u32 v13, s18, v2
	v_mad_u64_u32 v[10:11], null, s26, v7, 0
	v_mul_lo_u32 v2, s26, v2
	v_lshlrev_b64 v[0:1], 4, v[0:1]
	v_add3_u32 v9, v9, v13, v12
	v_add3_u32 v11, v11, v2, v14
	v_lshlrev_b64 v[7:8], 4, v[8:9]
	v_lshlrev_b64 v[9:10], 4, v[10:11]
	v_add_co_u32 v7, vcc_lo, s9, v7
	v_add_co_ci_u32_e64 v8, null, s10, v8, vcc_lo
	v_add_co_u32 v11, vcc_lo, s6, v9
	v_add_co_ci_u32_e64 v12, null, s7, v10, vcc_lo
	global_load_dwordx4 v[7:10], v[7:8], off
	s_clause 0x1
	global_load_dwordx4 v[11:14], v[11:12], off
	global_load_dwordx4 v[15:18], v[5:6], off
	;; [unrolled: 1-line block ×3, first 2 shown]
	v_add_co_u32 v23, vcc_lo, s2, v0
	v_add_co_ci_u32_e64 v24, null, s3, v1, vcc_lo
	global_load_dwordx4 v[19:22], v[23:24], off offset:1024
	s_waitcnt vmcnt(4)
	v_mul_f64 v[0:1], s[28:29], v[9:10]
	v_mul_f64 v[9:10], s[30:31], v[9:10]
	s_waitcnt vmcnt(3)
	v_mul_f64 v[25:26], s[30:31], v[11:12]
	v_mul_f64 v[27:28], s[30:31], v[13:14]
	v_fma_f64 v[0:1], s[30:31], v[7:8], v[0:1]
	v_fma_f64 v[6:7], s[28:29], v[7:8], -v[9:10]
	v_fma_f64 v[8:9], s[28:29], v[13:14], -v[25:26]
	v_fma_f64 v[10:11], s[28:29], v[11:12], v[27:28]
	s_waitcnt vmcnt(2)
	v_mul_f64 v[12:13], v[17:18], v[0:1]
	v_mul_f64 v[17:18], v[17:18], v[6:7]
	s_waitcnt vmcnt(1)
	v_mul_f64 v[25:26], v[4:5], v[8:9]
	v_mul_f64 v[4:5], v[4:5], v[10:11]
	v_fma_f64 v[6:7], v[15:16], v[6:7], v[12:13]
	v_fma_f64 v[0:1], v[15:16], v[0:1], -v[17:18]
	v_fma_f64 v[10:11], v[2:3], v[10:11], v[25:26]
	v_fma_f64 v[2:3], v[2:3], v[8:9], -v[4:5]
	v_add_f64 v[4:5], v[6:7], v[10:11]
	v_add_f64 v[2:3], v[0:1], v[2:3]
	s_waitcnt vmcnt(0)
	v_add_f64 v[0:1], v[19:20], v[4:5]
	v_add_f64 v[2:3], v[21:22], v[2:3]
	global_store_dwordx4 v[23:24], v[0:3], off offset:1024
.LBB2_23:
	s_endpgm
.LBB2_24:
	v_cmp_eq_u32_e32 vcc_lo, v7, v2
	v_cmp_gt_i32_e64 s0, s11, v7
	s_and_b32 s5, vcc_lo, s0
	s_and_saveexec_b32 s0, s5
	s_cbranch_execz .LBB2_26
; %bb.25:
	global_load_dwordx4 v[8:11], v[3:4], off
	global_load_dwordx4 v[12:15], v[5:6], off
	v_lshlrev_b64 v[16:17], 4, v[0:1]
	v_add_co_u32 v16, vcc_lo, s2, v16
	v_add_co_ci_u32_e64 v17, null, s3, v17, vcc_lo
	global_load_dwordx2 v[18:19], v[16:17], off offset:1024
	s_waitcnt vmcnt(2)
	v_mul_f64 v[20:21], s[28:29], v[10:11]
	v_mul_f64 v[22:23], s[30:31], v[10:11]
	s_waitcnt vmcnt(1)
	v_mul_f64 v[24:25], s[30:31], v[12:13]
	v_mul_f64 v[26:27], s[30:31], v[14:15]
	v_fma_f64 v[20:21], s[30:31], v[8:9], v[20:21]
	v_fma_f64 v[22:23], s[28:29], v[8:9], -v[22:23]
	v_fma_f64 v[24:25], s[28:29], v[14:15], -v[24:25]
	v_fma_f64 v[26:27], s[28:29], v[12:13], v[26:27]
	v_mul_f64 v[28:29], v[14:15], v[20:21]
	v_mul_f64 v[14:15], v[14:15], v[22:23]
	;; [unrolled: 1-line block ×4, first 2 shown]
	v_fma_f64 v[22:23], v[12:13], v[22:23], v[28:29]
	v_fma_f64 v[12:13], v[12:13], v[20:21], -v[14:15]
	v_fma_f64 v[14:15], v[8:9], v[26:27], v[30:31]
	v_fma_f64 v[10:11], v[8:9], v[24:25], -v[10:11]
	s_waitcnt vmcnt(0)
	v_add_f64 v[18:19], v[18:19], v[22:23]
	v_add_f64 v[10:11], v[12:13], v[10:11]
	;; [unrolled: 1-line block ×3, first 2 shown]
	global_store_dwordx4 v[16:17], v[8:11], off offset:1024
.LBB2_26:
	s_or_b32 exec_lo, exec_lo, s0
	s_andn2_b32 s1, s1, exec_lo
	s_or_b32 exec_lo, exec_lo, s4
	s_and_saveexec_b32 s0, s1
	s_cbranch_execnz .LBB2_22
	s_branch .LBB2_23
	.section	.rodata,"a",@progbits
	.p2align	6, 0x0
	.amdhsa_kernel _ZL19rocblas_hpr2_kernelILi64ELi16ELi2EPK19rocblas_complex_numIdES3_PS1_EvbiT2_T3_lllS6_lllT4_lli
		.amdhsa_group_segment_fixed_size 0
		.amdhsa_private_segment_fixed_size 0
		.amdhsa_kernarg_size 108
		.amdhsa_user_sgpr_count 6
		.amdhsa_user_sgpr_private_segment_buffer 1
		.amdhsa_user_sgpr_dispatch_ptr 0
		.amdhsa_user_sgpr_queue_ptr 0
		.amdhsa_user_sgpr_kernarg_segment_ptr 1
		.amdhsa_user_sgpr_dispatch_id 0
		.amdhsa_user_sgpr_flat_scratch_init 0
		.amdhsa_user_sgpr_private_segment_size 0
		.amdhsa_wavefront_size32 1
		.amdhsa_uses_dynamic_stack 0
		.amdhsa_system_sgpr_private_segment_wavefront_offset 0
		.amdhsa_system_sgpr_workgroup_id_x 1
		.amdhsa_system_sgpr_workgroup_id_y 1
		.amdhsa_system_sgpr_workgroup_id_z 1
		.amdhsa_system_sgpr_workgroup_info 0
		.amdhsa_system_vgpr_workitem_id 1
		.amdhsa_next_free_vgpr 36
		.amdhsa_next_free_sgpr 32
		.amdhsa_reserve_vcc 1
		.amdhsa_reserve_flat_scratch 0
		.amdhsa_float_round_mode_32 0
		.amdhsa_float_round_mode_16_64 0
		.amdhsa_float_denorm_mode_32 3
		.amdhsa_float_denorm_mode_16_64 3
		.amdhsa_dx10_clamp 1
		.amdhsa_ieee_mode 1
		.amdhsa_fp16_overflow 0
		.amdhsa_workgroup_processor_mode 1
		.amdhsa_memory_ordered 1
		.amdhsa_forward_progress 1
		.amdhsa_shared_vgpr_count 0
		.amdhsa_exception_fp_ieee_invalid_op 0
		.amdhsa_exception_fp_denorm_src 0
		.amdhsa_exception_fp_ieee_div_zero 0
		.amdhsa_exception_fp_ieee_overflow 0
		.amdhsa_exception_fp_ieee_underflow 0
		.amdhsa_exception_fp_ieee_inexact 0
		.amdhsa_exception_int_div_zero 0
	.end_amdhsa_kernel
	.section	.text._ZL19rocblas_hpr2_kernelILi64ELi16ELi2EPK19rocblas_complex_numIdES3_PS1_EvbiT2_T3_lllS6_lllT4_lli,"axG",@progbits,_ZL19rocblas_hpr2_kernelILi64ELi16ELi2EPK19rocblas_complex_numIdES3_PS1_EvbiT2_T3_lllS6_lllT4_lli,comdat
.Lfunc_end2:
	.size	_ZL19rocblas_hpr2_kernelILi64ELi16ELi2EPK19rocblas_complex_numIdES3_PS1_EvbiT2_T3_lllS6_lllT4_lli, .Lfunc_end2-_ZL19rocblas_hpr2_kernelILi64ELi16ELi2EPK19rocblas_complex_numIdES3_PS1_EvbiT2_T3_lllS6_lllT4_lli
                                        ; -- End function
	.set _ZL19rocblas_hpr2_kernelILi64ELi16ELi2EPK19rocblas_complex_numIdES3_PS1_EvbiT2_T3_lllS6_lllT4_lli.num_vgpr, 36
	.set _ZL19rocblas_hpr2_kernelILi64ELi16ELi2EPK19rocblas_complex_numIdES3_PS1_EvbiT2_T3_lllS6_lllT4_lli.num_agpr, 0
	.set _ZL19rocblas_hpr2_kernelILi64ELi16ELi2EPK19rocblas_complex_numIdES3_PS1_EvbiT2_T3_lllS6_lllT4_lli.numbered_sgpr, 32
	.set _ZL19rocblas_hpr2_kernelILi64ELi16ELi2EPK19rocblas_complex_numIdES3_PS1_EvbiT2_T3_lllS6_lllT4_lli.num_named_barrier, 0
	.set _ZL19rocblas_hpr2_kernelILi64ELi16ELi2EPK19rocblas_complex_numIdES3_PS1_EvbiT2_T3_lllS6_lllT4_lli.private_seg_size, 0
	.set _ZL19rocblas_hpr2_kernelILi64ELi16ELi2EPK19rocblas_complex_numIdES3_PS1_EvbiT2_T3_lllS6_lllT4_lli.uses_vcc, 1
	.set _ZL19rocblas_hpr2_kernelILi64ELi16ELi2EPK19rocblas_complex_numIdES3_PS1_EvbiT2_T3_lllS6_lllT4_lli.uses_flat_scratch, 0
	.set _ZL19rocblas_hpr2_kernelILi64ELi16ELi2EPK19rocblas_complex_numIdES3_PS1_EvbiT2_T3_lllS6_lllT4_lli.has_dyn_sized_stack, 0
	.set _ZL19rocblas_hpr2_kernelILi64ELi16ELi2EPK19rocblas_complex_numIdES3_PS1_EvbiT2_T3_lllS6_lllT4_lli.has_recursion, 0
	.set _ZL19rocblas_hpr2_kernelILi64ELi16ELi2EPK19rocblas_complex_numIdES3_PS1_EvbiT2_T3_lllS6_lllT4_lli.has_indirect_call, 0
	.section	.AMDGPU.csdata,"",@progbits
; Kernel info:
; codeLenInByte = 2112
; TotalNumSgprs: 34
; NumVgprs: 36
; ScratchSize: 0
; MemoryBound: 0
; FloatMode: 240
; IeeeMode: 1
; LDSByteSize: 0 bytes/workgroup (compile time only)
; SGPRBlocks: 0
; VGPRBlocks: 4
; NumSGPRsForWavesPerEU: 34
; NumVGPRsForWavesPerEU: 36
; Occupancy: 16
; WaveLimiterHint : 0
; COMPUTE_PGM_RSRC2:SCRATCH_EN: 0
; COMPUTE_PGM_RSRC2:USER_SGPR: 6
; COMPUTE_PGM_RSRC2:TRAP_HANDLER: 0
; COMPUTE_PGM_RSRC2:TGID_X_EN: 1
; COMPUTE_PGM_RSRC2:TGID_Y_EN: 1
; COMPUTE_PGM_RSRC2:TGID_Z_EN: 1
; COMPUTE_PGM_RSRC2:TIDIG_COMP_CNT: 1
	.section	.text._ZL19rocblas_hpr2_kernelILi64ELi16ELi2E19rocblas_complex_numIdEPKS1_PS1_EvbiT2_T3_lllS6_lllT4_lli,"axG",@progbits,_ZL19rocblas_hpr2_kernelILi64ELi16ELi2E19rocblas_complex_numIdEPKS1_PS1_EvbiT2_T3_lllS6_lllT4_lli,comdat
	.globl	_ZL19rocblas_hpr2_kernelILi64ELi16ELi2E19rocblas_complex_numIdEPKS1_PS1_EvbiT2_T3_lllS6_lllT4_lli ; -- Begin function _ZL19rocblas_hpr2_kernelILi64ELi16ELi2E19rocblas_complex_numIdEPKS1_PS1_EvbiT2_T3_lllS6_lllT4_lli
	.p2align	8
	.type	_ZL19rocblas_hpr2_kernelILi64ELi16ELi2E19rocblas_complex_numIdEPKS1_PS1_EvbiT2_T3_lllS6_lllT4_lli,@function
_ZL19rocblas_hpr2_kernelILi64ELi16ELi2E19rocblas_complex_numIdEPKS1_PS1_EvbiT2_T3_lllS6_lllT4_lli: ; @_ZL19rocblas_hpr2_kernelILi64ELi16ELi2E19rocblas_complex_numIdEPKS1_PS1_EvbiT2_T3_lllS6_lllT4_lli
; %bb.0:
	s_load_dwordx16 s[12:27], s[4:5], 0x8
	s_waitcnt lgkmcnt(0)
	v_cmp_neq_f64_e64 s0, s[12:13], 0
	v_cmp_neq_f64_e64 s1, s[14:15], 0
	s_or_b32 s0, s0, s1
	s_andn2_b32 vcc_lo, exec_lo, s0
	s_cbranch_vccnz .LBB3_23
; %bb.1:
	s_load_dwordx2 s[2:3], s[4:5], 0x0
	v_lshl_add_u32 v9, s6, 7, v0
	v_lshl_add_u32 v2, s7, 4, v1
                                        ; implicit-def: $vgpr0
	s_waitcnt lgkmcnt(0)
	s_bitcmp1_b32 s2, 0
	s_cselect_b32 s0, -1, 0
	s_xor_b32 s9, s0, -1
	s_mov_b32 s0, -1
	s_and_b32 vcc_lo, exec_lo, s9
	s_cbranch_vccz .LBB3_3
; %bb.2:
	s_lshl_b32 s0, s3, 1
	v_sub_nc_u32_e32 v0, s0, v2
	s_mov_b32 s0, 0
	v_mad_u64_u32 v[0:1], null, v2, v0, v[2:3]
	v_lshrrev_b32_e32 v1, 31, v0
	v_add_nc_u32_e32 v0, v0, v1
	v_sub_nc_u32_e32 v1, v9, v2
	v_ashrrev_i32_e32 v0, 1, v0
	v_add_nc_u32_e32 v0, v1, v0
.LBB3_3:
	s_andn2_b32 vcc_lo, exec_lo, s0
	s_cbranch_vccnz .LBB3_5
; %bb.4:
	v_mad_u64_u32 v[0:1], null, v2, v2, v[2:3]
	v_lshrrev_b32_e32 v1, 31, v0
	v_add_nc_u32_e32 v0, v0, v1
	v_ashrrev_i32_e32 v0, 1, v0
	v_add_nc_u32_e32 v0, v0, v9
.LBB3_5:
	s_clause 0x1
	s_load_dwordx8 s[36:43], s[4:5], 0x48
	s_load_dwordx2 s[0:1], s[4:5], 0x68
	s_mul_i32 s2, s23, s8
	s_mul_hi_u32 s5, s22, s8
	s_mul_i32 s4, s22, s8
	s_add_i32 s5, s5, s2
	v_ashrrev_i32_e32 v1, 31, v2
	s_lshl_b64 s[4:5], s[4:5], 4
	v_mul_lo_u32 v10, s21, v2
	s_add_u32 s2, s16, s4
	s_addc_u32 s6, s17, s5
	s_lshl_b64 s[4:5], s[18:19], 4
	v_mad_u64_u32 v[5:6], null, s20, v2, 0
	s_add_u32 s2, s2, s4
	s_addc_u32 s4, s6, s5
	s_waitcnt lgkmcnt(0)
	s_mul_i32 s5, s39, s8
	s_mul_hi_u32 s7, s38, s8
	s_mul_i32 s6, s38, s8
	s_add_i32 s7, s7, s5
	v_mul_lo_u32 v7, s37, v2
	v_mul_lo_u32 v8, s36, v1
	v_mad_u64_u32 v[3:4], null, s36, v2, 0
	v_mul_lo_u32 v1, s20, v1
	s_lshl_b64 s[6:7], s[6:7], 4
	s_mul_i32 s1, s1, s8
	s_add_u32 s5, s24, s6
	s_addc_u32 s6, s25, s7
	s_lshl_b64 s[10:11], s[26:27], 4
	s_mul_hi_u32 s16, s0, s8
	s_add_u32 s7, s5, s10
	s_mul_i32 s0, s0, s8
	s_addc_u32 s8, s6, s11
	s_add_i32 s1, s16, s1
	v_add3_u32 v4, v4, v8, v7
	v_add3_u32 v6, v6, v1, v10
	s_lshl_b64 s[0:1], s[0:1], 4
	s_add_u32 s5, s40, s0
	s_addc_u32 s6, s41, s1
	s_lshl_b64 s[0:1], s[42:43], 4
	v_lshlrev_b64 v[3:4], 4, v[3:4]
	v_lshlrev_b64 v[7:8], 4, v[5:6]
	s_add_u32 s5, s5, s0
	v_cmp_gt_i32_e64 s0, s3, v2
	s_addc_u32 s6, s6, s1
	s_and_b32 vcc_lo, exec_lo, s9
	s_cbranch_vccz .LBB3_7
; %bb.6:
	v_cmp_le_i32_e32 vcc_lo, s3, v9
	v_cmp_le_i32_e64 s1, v9, v2
	s_mov_b32 s11, 0
	s_mov_b32 s10, -1
	s_or_b32 s1, s1, vcc_lo
	s_and_b32 s1, s1, exec_lo
	s_branch .LBB3_8
.LBB3_7:
	s_mov_b32 s11, -1
	s_mov_b32 s1, 0
	s_mov_b32 s10, 0
.LBB3_8:
	v_add_co_u32 v5, vcc_lo, s7, v3
	v_add_co_ci_u32_e64 v6, null, s8, v4, vcc_lo
	v_add_co_u32 v3, vcc_lo, s2, v7
	v_add_co_ci_u32_e64 v4, null, s4, v8, vcc_lo
	s_andn2_b32 vcc_lo, exec_lo, s11
	s_cbranch_vccz .LBB3_14
; %bb.9:
	s_and_saveexec_b32 s11, s1
	s_xor_b32 s11, exec_lo, s11
	s_cbranch_execnz .LBB3_15
.LBB3_10:
	s_or_b32 exec_lo, exec_lo, s11
	v_ashrrev_i32_e32 v1, 31, v0
	s_and_saveexec_b32 s1, s10
	s_cbranch_execz .LBB3_12
.LBB3_11:
	v_ashrrev_i32_e32 v12, 31, v9
	v_mul_lo_u32 v13, s21, v9
	v_mad_u64_u32 v[7:8], null, s20, v9, 0
	v_mul_lo_u32 v15, s37, v9
	v_mul_lo_u32 v14, s20, v12
	v_mad_u64_u32 v[10:11], null, s36, v9, 0
	v_mul_lo_u32 v12, s36, v12
	v_add3_u32 v8, v8, v14, v13
	v_add3_u32 v11, v11, v12, v15
	v_lshlrev_b64 v[7:8], 4, v[7:8]
	v_lshlrev_b64 v[10:11], 4, v[10:11]
	v_add_co_u32 v7, vcc_lo, s2, v7
	v_add_co_ci_u32_e64 v8, null, s4, v8, vcc_lo
	v_add_co_u32 v14, vcc_lo, s7, v10
	v_add_co_ci_u32_e64 v15, null, s8, v11, vcc_lo
	global_load_dwordx4 v[10:13], v[7:8], off
	s_clause 0x1
	global_load_dwordx4 v[14:17], v[14:15], off
	global_load_dwordx4 v[18:21], v[5:6], off
	;; [unrolled: 1-line block ×3, first 2 shown]
	v_lshlrev_b64 v[7:8], 4, v[0:1]
	v_add_co_u32 v7, vcc_lo, s5, v7
	v_add_co_ci_u32_e64 v8, null, s6, v8, vcc_lo
	global_load_dwordx4 v[26:29], v[7:8], off
	s_waitcnt vmcnt(4)
	v_mul_f64 v[30:31], s[12:13], v[12:13]
	v_mul_f64 v[12:13], s[14:15], v[12:13]
	s_waitcnt vmcnt(3)
	v_mul_f64 v[32:33], s[14:15], v[14:15]
	v_mul_f64 v[34:35], s[14:15], v[16:17]
	v_fma_f64 v[30:31], s[14:15], v[10:11], v[30:31]
	v_fma_f64 v[10:11], s[12:13], v[10:11], -v[12:13]
	v_fma_f64 v[12:13], s[12:13], v[16:17], -v[32:33]
	v_fma_f64 v[14:15], s[12:13], v[14:15], v[34:35]
	s_waitcnt vmcnt(2)
	v_mul_f64 v[16:17], v[20:21], v[30:31]
	v_mul_f64 v[20:21], v[20:21], v[10:11]
	s_waitcnt vmcnt(1)
	v_mul_f64 v[32:33], v[24:25], v[12:13]
	v_mul_f64 v[24:25], v[24:25], v[14:15]
	v_fma_f64 v[10:11], v[18:19], v[10:11], v[16:17]
	v_fma_f64 v[16:17], v[18:19], v[30:31], -v[20:21]
	v_fma_f64 v[14:15], v[22:23], v[14:15], v[32:33]
	v_fma_f64 v[12:13], v[22:23], v[12:13], -v[24:25]
	v_add_f64 v[10:11], v[10:11], v[14:15]
	v_add_f64 v[12:13], v[16:17], v[12:13]
	s_waitcnt vmcnt(0)
	v_add_f64 v[10:11], v[26:27], v[10:11]
	v_add_f64 v[12:13], v[28:29], v[12:13]
	global_store_dwordx4 v[7:8], v[10:13], off
.LBB3_12:
	s_or_b32 exec_lo, exec_lo, s1
	v_add_nc_u32_e32 v7, 64, v9
	s_andn2_b32 vcc_lo, exec_lo, s9
	v_cmp_gt_i32_e64 s1, s3, v7
	s_cbranch_vccnz .LBB3_18
; %bb.13:
	v_cmp_lt_i32_e32 vcc_lo, v2, v7
	s_and_b32 s1, s1, vcc_lo
	s_xor_b32 s10, s1, -1
	s_and_b32 s1, s1, exec_lo
	s_and_b32 s10, s10, exec_lo
	s_cbranch_execz .LBB3_19
	s_branch .LBB3_20
.LBB3_14:
	v_cmp_lt_i32_e32 vcc_lo, v9, v2
	s_andn2_b32 s10, s10, exec_lo
	s_andn2_b32 s1, s1, exec_lo
	s_and_b32 s11, vcc_lo, s0
	s_xor_b32 s16, s11, -1
	s_and_b32 s11, s11, exec_lo
	s_and_b32 s16, s16, exec_lo
	s_or_b32 s10, s10, s11
	s_or_b32 s1, s1, s16
	s_and_saveexec_b32 s11, s1
	s_xor_b32 s11, exec_lo, s11
	s_cbranch_execz .LBB3_10
.LBB3_15:
	v_cmp_eq_u32_e32 vcc_lo, v9, v2
	v_cmp_gt_i32_e64 s1, s3, v9
	s_and_b32 s16, vcc_lo, s1
	s_and_saveexec_b32 s1, s16
	s_cbranch_execz .LBB3_17
; %bb.16:
	v_ashrrev_i32_e32 v1, 31, v9
	v_mul_lo_u32 v10, s21, v9
	v_mad_u64_u32 v[7:8], null, s20, v9, 0
	v_mul_lo_u32 v16, s37, v9
	v_mul_lo_u32 v11, s20, v1
	v_mad_u64_u32 v[14:15], null, s36, v9, 0
	v_mul_lo_u32 v1, s36, v1
	v_add3_u32 v8, v8, v11, v10
	v_add3_u32 v15, v15, v1, v16
	v_ashrrev_i32_e32 v1, 31, v0
	v_lshlrev_b64 v[7:8], 4, v[7:8]
	v_add_co_u32 v7, vcc_lo, s2, v7
	v_add_co_ci_u32_e64 v8, null, s4, v8, vcc_lo
	global_load_dwordx4 v[10:13], v[7:8], off
	v_lshlrev_b64 v[7:8], 4, v[14:15]
	v_add_co_u32 v7, vcc_lo, s7, v7
	v_add_co_ci_u32_e64 v8, null, s8, v8, vcc_lo
	s_clause 0x1
	global_load_dwordx4 v[14:17], v[7:8], off
	global_load_dwordx4 v[18:21], v[5:6], off
	;; [unrolled: 1-line block ×3, first 2 shown]
	v_lshlrev_b64 v[7:8], 4, v[0:1]
	v_add_co_u32 v7, vcc_lo, s5, v7
	v_add_co_ci_u32_e64 v8, null, s6, v8, vcc_lo
	global_load_dwordx2 v[26:27], v[7:8], off
	s_waitcnt vmcnt(4)
	v_mul_f64 v[28:29], s[12:13], v[12:13]
	v_mul_f64 v[12:13], s[14:15], v[12:13]
	s_waitcnt vmcnt(3)
	v_mul_f64 v[30:31], s[14:15], v[14:15]
	v_mul_f64 v[32:33], s[14:15], v[16:17]
	v_fma_f64 v[28:29], s[14:15], v[10:11], v[28:29]
	v_fma_f64 v[10:11], s[12:13], v[10:11], -v[12:13]
	v_fma_f64 v[12:13], s[12:13], v[16:17], -v[30:31]
	v_fma_f64 v[14:15], s[12:13], v[14:15], v[32:33]
	s_waitcnt vmcnt(2)
	v_mul_f64 v[16:17], v[20:21], v[28:29]
	v_mul_f64 v[20:21], v[20:21], v[10:11]
	s_waitcnt vmcnt(1)
	v_mul_f64 v[30:31], v[24:25], v[12:13]
	v_fma_f64 v[10:11], v[18:19], v[10:11], v[16:17]
	v_mul_f64 v[16:17], v[24:25], v[14:15]
	v_fma_f64 v[18:19], v[18:19], v[28:29], -v[20:21]
	v_fma_f64 v[14:15], v[22:23], v[14:15], v[30:31]
	s_waitcnt vmcnt(0)
	v_add_f64 v[10:11], v[26:27], v[10:11]
	v_fma_f64 v[12:13], v[22:23], v[12:13], -v[16:17]
	v_add_f64 v[10:11], v[10:11], v[14:15]
	v_add_f64 v[12:13], v[18:19], v[12:13]
	global_store_dwordx4 v[7:8], v[10:13], off
.LBB3_17:
	s_or_b32 exec_lo, exec_lo, s1
	s_andn2_b32 s10, s10, exec_lo
	s_or_b32 exec_lo, exec_lo, s11
	v_ashrrev_i32_e32 v1, 31, v0
	s_and_saveexec_b32 s1, s10
	s_cbranch_execnz .LBB3_11
	s_branch .LBB3_12
.LBB3_18:
	s_mov_b32 s10, 0
	s_mov_b32 s1, 0
.LBB3_19:
	v_cmp_ge_i32_e32 vcc_lo, v7, v2
	s_xor_b32 s0, s0, -1
	s_andn2_b32 s9, s10, exec_lo
	s_or_b32 s1, s1, exec_lo
	s_or_b32 s0, s0, vcc_lo
	s_and_b32 s0, s0, exec_lo
	s_or_b32 s10, s9, s0
.LBB3_20:
	s_and_saveexec_b32 s9, s10
	s_cbranch_execnz .LBB3_24
; %bb.21:
	s_or_b32 exec_lo, exec_lo, s9
	s_and_saveexec_b32 s0, s1
	s_cbranch_execz .LBB3_23
.LBB3_22:
	v_ashrrev_i32_e32 v2, 31, v7
	v_mul_lo_u32 v12, s21, v7
	v_mad_u64_u32 v[8:9], null, s20, v7, 0
	v_mul_lo_u32 v14, s37, v7
	v_mul_lo_u32 v13, s20, v2
	v_mad_u64_u32 v[10:11], null, s36, v7, 0
	v_mul_lo_u32 v2, s36, v2
	v_lshlrev_b64 v[0:1], 4, v[0:1]
	v_add3_u32 v9, v9, v13, v12
	v_add3_u32 v11, v11, v2, v14
	v_lshlrev_b64 v[7:8], 4, v[8:9]
	v_lshlrev_b64 v[9:10], 4, v[10:11]
	v_add_co_u32 v7, vcc_lo, s2, v7
	v_add_co_ci_u32_e64 v8, null, s4, v8, vcc_lo
	v_add_co_u32 v11, vcc_lo, s7, v9
	v_add_co_ci_u32_e64 v12, null, s8, v10, vcc_lo
	global_load_dwordx4 v[7:10], v[7:8], off
	s_clause 0x1
	global_load_dwordx4 v[11:14], v[11:12], off
	global_load_dwordx4 v[15:18], v[5:6], off
	;; [unrolled: 1-line block ×3, first 2 shown]
	v_add_co_u32 v23, vcc_lo, s5, v0
	v_add_co_ci_u32_e64 v24, null, s6, v1, vcc_lo
	global_load_dwordx4 v[19:22], v[23:24], off offset:1024
	s_waitcnt vmcnt(4)
	v_mul_f64 v[0:1], s[12:13], v[9:10]
	v_mul_f64 v[9:10], s[14:15], v[9:10]
	s_waitcnt vmcnt(3)
	v_mul_f64 v[25:26], s[14:15], v[11:12]
	v_mul_f64 v[27:28], s[14:15], v[13:14]
	v_fma_f64 v[0:1], s[14:15], v[7:8], v[0:1]
	v_fma_f64 v[6:7], s[12:13], v[7:8], -v[9:10]
	v_fma_f64 v[8:9], s[12:13], v[13:14], -v[25:26]
	v_fma_f64 v[10:11], s[12:13], v[11:12], v[27:28]
	s_waitcnt vmcnt(2)
	v_mul_f64 v[12:13], v[17:18], v[0:1]
	v_mul_f64 v[17:18], v[17:18], v[6:7]
	s_waitcnt vmcnt(1)
	v_mul_f64 v[25:26], v[4:5], v[8:9]
	v_mul_f64 v[4:5], v[4:5], v[10:11]
	v_fma_f64 v[6:7], v[15:16], v[6:7], v[12:13]
	v_fma_f64 v[0:1], v[15:16], v[0:1], -v[17:18]
	v_fma_f64 v[10:11], v[2:3], v[10:11], v[25:26]
	v_fma_f64 v[2:3], v[2:3], v[8:9], -v[4:5]
	v_add_f64 v[4:5], v[6:7], v[10:11]
	v_add_f64 v[2:3], v[0:1], v[2:3]
	s_waitcnt vmcnt(0)
	v_add_f64 v[0:1], v[19:20], v[4:5]
	v_add_f64 v[2:3], v[21:22], v[2:3]
	global_store_dwordx4 v[23:24], v[0:3], off offset:1024
.LBB3_23:
	s_endpgm
.LBB3_24:
	v_cmp_eq_u32_e32 vcc_lo, v7, v2
	v_cmp_gt_i32_e64 s0, s3, v7
	s_and_b32 s3, vcc_lo, s0
	s_and_saveexec_b32 s0, s3
	s_cbranch_execz .LBB3_26
; %bb.25:
	global_load_dwordx4 v[8:11], v[3:4], off
	global_load_dwordx4 v[12:15], v[5:6], off
	v_lshlrev_b64 v[16:17], 4, v[0:1]
	v_add_co_u32 v16, vcc_lo, s5, v16
	v_add_co_ci_u32_e64 v17, null, s6, v17, vcc_lo
	global_load_dwordx2 v[18:19], v[16:17], off offset:1024
	s_waitcnt vmcnt(2)
	v_mul_f64 v[20:21], s[12:13], v[10:11]
	v_mul_f64 v[22:23], s[14:15], v[10:11]
	s_waitcnt vmcnt(1)
	v_mul_f64 v[24:25], s[14:15], v[12:13]
	v_mul_f64 v[26:27], s[14:15], v[14:15]
	v_fma_f64 v[20:21], s[14:15], v[8:9], v[20:21]
	v_fma_f64 v[22:23], s[12:13], v[8:9], -v[22:23]
	v_fma_f64 v[24:25], s[12:13], v[14:15], -v[24:25]
	v_fma_f64 v[26:27], s[12:13], v[12:13], v[26:27]
	v_mul_f64 v[28:29], v[14:15], v[20:21]
	v_mul_f64 v[14:15], v[14:15], v[22:23]
	;; [unrolled: 1-line block ×4, first 2 shown]
	v_fma_f64 v[22:23], v[12:13], v[22:23], v[28:29]
	v_fma_f64 v[12:13], v[12:13], v[20:21], -v[14:15]
	v_fma_f64 v[14:15], v[8:9], v[26:27], v[30:31]
	v_fma_f64 v[10:11], v[8:9], v[24:25], -v[10:11]
	s_waitcnt vmcnt(0)
	v_add_f64 v[18:19], v[18:19], v[22:23]
	v_add_f64 v[10:11], v[12:13], v[10:11]
	;; [unrolled: 1-line block ×3, first 2 shown]
	global_store_dwordx4 v[16:17], v[8:11], off offset:1024
.LBB3_26:
	s_or_b32 exec_lo, exec_lo, s0
	s_andn2_b32 s1, s1, exec_lo
	s_or_b32 exec_lo, exec_lo, s9
	s_and_saveexec_b32 s0, s1
	s_cbranch_execnz .LBB3_22
	s_branch .LBB3_23
	.section	.rodata,"a",@progbits
	.p2align	6, 0x0
	.amdhsa_kernel _ZL19rocblas_hpr2_kernelILi64ELi16ELi2E19rocblas_complex_numIdEPKS1_PS1_EvbiT2_T3_lllS6_lllT4_lli
		.amdhsa_group_segment_fixed_size 0
		.amdhsa_private_segment_fixed_size 0
		.amdhsa_kernarg_size 116
		.amdhsa_user_sgpr_count 6
		.amdhsa_user_sgpr_private_segment_buffer 1
		.amdhsa_user_sgpr_dispatch_ptr 0
		.amdhsa_user_sgpr_queue_ptr 0
		.amdhsa_user_sgpr_kernarg_segment_ptr 1
		.amdhsa_user_sgpr_dispatch_id 0
		.amdhsa_user_sgpr_flat_scratch_init 0
		.amdhsa_user_sgpr_private_segment_size 0
		.amdhsa_wavefront_size32 1
		.amdhsa_uses_dynamic_stack 0
		.amdhsa_system_sgpr_private_segment_wavefront_offset 0
		.amdhsa_system_sgpr_workgroup_id_x 1
		.amdhsa_system_sgpr_workgroup_id_y 1
		.amdhsa_system_sgpr_workgroup_id_z 1
		.amdhsa_system_sgpr_workgroup_info 0
		.amdhsa_system_vgpr_workitem_id 1
		.amdhsa_next_free_vgpr 36
		.amdhsa_next_free_sgpr 44
		.amdhsa_reserve_vcc 1
		.amdhsa_reserve_flat_scratch 0
		.amdhsa_float_round_mode_32 0
		.amdhsa_float_round_mode_16_64 0
		.amdhsa_float_denorm_mode_32 3
		.amdhsa_float_denorm_mode_16_64 3
		.amdhsa_dx10_clamp 1
		.amdhsa_ieee_mode 1
		.amdhsa_fp16_overflow 0
		.amdhsa_workgroup_processor_mode 1
		.amdhsa_memory_ordered 1
		.amdhsa_forward_progress 1
		.amdhsa_shared_vgpr_count 0
		.amdhsa_exception_fp_ieee_invalid_op 0
		.amdhsa_exception_fp_denorm_src 0
		.amdhsa_exception_fp_ieee_div_zero 0
		.amdhsa_exception_fp_ieee_overflow 0
		.amdhsa_exception_fp_ieee_underflow 0
		.amdhsa_exception_fp_ieee_inexact 0
		.amdhsa_exception_int_div_zero 0
	.end_amdhsa_kernel
	.section	.text._ZL19rocblas_hpr2_kernelILi64ELi16ELi2E19rocblas_complex_numIdEPKS1_PS1_EvbiT2_T3_lllS6_lllT4_lli,"axG",@progbits,_ZL19rocblas_hpr2_kernelILi64ELi16ELi2E19rocblas_complex_numIdEPKS1_PS1_EvbiT2_T3_lllS6_lllT4_lli,comdat
.Lfunc_end3:
	.size	_ZL19rocblas_hpr2_kernelILi64ELi16ELi2E19rocblas_complex_numIdEPKS1_PS1_EvbiT2_T3_lllS6_lllT4_lli, .Lfunc_end3-_ZL19rocblas_hpr2_kernelILi64ELi16ELi2E19rocblas_complex_numIdEPKS1_PS1_EvbiT2_T3_lllS6_lllT4_lli
                                        ; -- End function
	.set _ZL19rocblas_hpr2_kernelILi64ELi16ELi2E19rocblas_complex_numIdEPKS1_PS1_EvbiT2_T3_lllS6_lllT4_lli.num_vgpr, 36
	.set _ZL19rocblas_hpr2_kernelILi64ELi16ELi2E19rocblas_complex_numIdEPKS1_PS1_EvbiT2_T3_lllS6_lllT4_lli.num_agpr, 0
	.set _ZL19rocblas_hpr2_kernelILi64ELi16ELi2E19rocblas_complex_numIdEPKS1_PS1_EvbiT2_T3_lllS6_lllT4_lli.numbered_sgpr, 44
	.set _ZL19rocblas_hpr2_kernelILi64ELi16ELi2E19rocblas_complex_numIdEPKS1_PS1_EvbiT2_T3_lllS6_lllT4_lli.num_named_barrier, 0
	.set _ZL19rocblas_hpr2_kernelILi64ELi16ELi2E19rocblas_complex_numIdEPKS1_PS1_EvbiT2_T3_lllS6_lllT4_lli.private_seg_size, 0
	.set _ZL19rocblas_hpr2_kernelILi64ELi16ELi2E19rocblas_complex_numIdEPKS1_PS1_EvbiT2_T3_lllS6_lllT4_lli.uses_vcc, 1
	.set _ZL19rocblas_hpr2_kernelILi64ELi16ELi2E19rocblas_complex_numIdEPKS1_PS1_EvbiT2_T3_lllS6_lllT4_lli.uses_flat_scratch, 0
	.set _ZL19rocblas_hpr2_kernelILi64ELi16ELi2E19rocblas_complex_numIdEPKS1_PS1_EvbiT2_T3_lllS6_lllT4_lli.has_dyn_sized_stack, 0
	.set _ZL19rocblas_hpr2_kernelILi64ELi16ELi2E19rocblas_complex_numIdEPKS1_PS1_EvbiT2_T3_lllS6_lllT4_lli.has_recursion, 0
	.set _ZL19rocblas_hpr2_kernelILi64ELi16ELi2E19rocblas_complex_numIdEPKS1_PS1_EvbiT2_T3_lllS6_lllT4_lli.has_indirect_call, 0
	.section	.AMDGPU.csdata,"",@progbits
; Kernel info:
; codeLenInByte = 2112
; TotalNumSgprs: 46
; NumVgprs: 36
; ScratchSize: 0
; MemoryBound: 0
; FloatMode: 240
; IeeeMode: 1
; LDSByteSize: 0 bytes/workgroup (compile time only)
; SGPRBlocks: 0
; VGPRBlocks: 4
; NumSGPRsForWavesPerEU: 46
; NumVGPRsForWavesPerEU: 36
; Occupancy: 16
; WaveLimiterHint : 0
; COMPUTE_PGM_RSRC2:SCRATCH_EN: 0
; COMPUTE_PGM_RSRC2:USER_SGPR: 6
; COMPUTE_PGM_RSRC2:TRAP_HANDLER: 0
; COMPUTE_PGM_RSRC2:TGID_X_EN: 1
; COMPUTE_PGM_RSRC2:TGID_Y_EN: 1
; COMPUTE_PGM_RSRC2:TGID_Z_EN: 1
; COMPUTE_PGM_RSRC2:TIDIG_COMP_CNT: 1
	.section	.text._ZL19rocblas_hpr2_kernelILi64ELi16ELi2EPK19rocblas_complex_numIfEPKS3_PKPS1_EvbiT2_T3_lllSA_lllT4_lli,"axG",@progbits,_ZL19rocblas_hpr2_kernelILi64ELi16ELi2EPK19rocblas_complex_numIfEPKS3_PKPS1_EvbiT2_T3_lllSA_lllT4_lli,comdat
	.globl	_ZL19rocblas_hpr2_kernelILi64ELi16ELi2EPK19rocblas_complex_numIfEPKS3_PKPS1_EvbiT2_T3_lllSA_lllT4_lli ; -- Begin function _ZL19rocblas_hpr2_kernelILi64ELi16ELi2EPK19rocblas_complex_numIfEPKS3_PKPS1_EvbiT2_T3_lllSA_lllT4_lli
	.p2align	8
	.type	_ZL19rocblas_hpr2_kernelILi64ELi16ELi2EPK19rocblas_complex_numIfEPKS3_PKPS1_EvbiT2_T3_lllSA_lllT4_lli,@function
_ZL19rocblas_hpr2_kernelILi64ELi16ELi2EPK19rocblas_complex_numIfEPKS3_PKPS1_EvbiT2_T3_lllSA_lllT4_lli: ; @_ZL19rocblas_hpr2_kernelILi64ELi16ELi2EPK19rocblas_complex_numIfEPKS3_PKPS1_EvbiT2_T3_lllSA_lllT4_lli
; %bb.0:
	s_load_dwordx8 s[12:19], s[4:5], 0x8
	s_mov_b32 s9, 0
	s_waitcnt lgkmcnt(0)
	s_load_dwordx2 s[10:11], s[12:13], 0x0
	s_waitcnt lgkmcnt(0)
	v_cmp_neq_f32_e64 s0, s10, 0
	v_cmp_neq_f32_e64 s1, s11, 0
	s_or_b32 s0, s0, s1
	s_andn2_b32 vcc_lo, exec_lo, s0
	s_cbranch_vccnz .LBB4_23
; %bb.1:
	s_clause 0x3
	s_load_dwordx2 s[12:13], s[4:5], 0x0
	s_load_dwordx4 s[0:3], s[4:5], 0x30
	s_load_dwordx4 s[20:23], s[4:5], 0x50
	s_load_dwordx2 s[4:5], s[4:5], 0x40
	v_lshl_add_u32 v9, s6, 7, v0
	v_lshl_add_u32 v6, s7, 4, v1
	s_mov_b32 s6, -1
                                        ; implicit-def: $vgpr0
	s_waitcnt lgkmcnt(0)
	s_bitcmp1_b32 s12, 0
	s_cselect_b32 s12, -1, 0
	s_lshl_b64 s[24:25], s[8:9], 3
	s_xor_b32 s12, s12, -1
	s_add_u32 s8, s14, s24
	s_addc_u32 s9, s15, s25
	s_add_u32 s0, s0, s24
	s_addc_u32 s1, s1, s25
	;; [unrolled: 2-line block ×3, first 2 shown]
	s_load_dwordx2 s[8:9], s[8:9], 0x0
	s_load_dwordx2 s[14:15], s[0:1], 0x0
	;; [unrolled: 1-line block ×3, first 2 shown]
	s_and_b32 vcc_lo, exec_lo, s12
	s_cbranch_vccz .LBB4_3
; %bb.2:
	s_lshl_b32 s6, s13, 1
	v_sub_nc_u32_e32 v0, s6, v6
	s_mov_b32 s6, 0
	v_mad_u64_u32 v[0:1], null, v6, v0, v[6:7]
	v_lshrrev_b32_e32 v1, 31, v0
	v_add_nc_u32_e32 v0, v0, v1
	v_sub_nc_u32_e32 v1, v9, v6
	v_ashrrev_i32_e32 v0, 1, v0
	v_add_nc_u32_e32 v0, v1, v0
.LBB4_3:
	s_andn2_b32 vcc_lo, exec_lo, s6
	s_cbranch_vccnz .LBB4_5
; %bb.4:
	v_mad_u64_u32 v[0:1], null, v6, v6, v[6:7]
	v_lshrrev_b32_e32 v1, 31, v0
	v_add_nc_u32_e32 v0, v0, v1
	v_ashrrev_i32_e32 v0, 1, v0
	v_add_nc_u32_e32 v0, v0, v9
.LBB4_5:
	v_ashrrev_i32_e32 v3, 31, v6
	v_mul_lo_u32 v5, s5, v6
	v_mad_u64_u32 v[1:2], null, s4, v6, 0
	v_mul_lo_u32 v8, s19, v6
	v_mul_lo_u32 v7, s4, v3
	;; [unrolled: 1-line block ×3, first 2 shown]
	v_mad_u64_u32 v[3:4], null, s18, v6, 0
	s_lshl_b64 s[6:7], s[16:17], 3
	s_waitcnt lgkmcnt(0)
	s_add_u32 s6, s8, s6
	s_addc_u32 s7, s9, s7
	v_add3_u32 v2, v2, v7, v5
	s_lshl_b64 s[2:3], s[2:3], 3
	v_add3_u32 v4, v4, v10, v8
	s_add_u32 s8, s14, s2
	s_addc_u32 s9, s15, s3
	s_lshl_b64 s[2:3], s[22:23], 3
	v_lshlrev_b64 v[1:2], 3, v[1:2]
	v_lshlrev_b64 v[7:8], 3, v[3:4]
	s_add_u32 s2, s0, s2
	v_cmp_gt_i32_e64 s0, s13, v6
	s_addc_u32 s3, s1, s3
	s_and_b32 vcc_lo, exec_lo, s12
	s_cbranch_vccz .LBB4_7
; %bb.6:
	v_cmp_le_i32_e32 vcc_lo, s13, v9
	v_cmp_le_i32_e64 s1, v9, v6
	s_mov_b32 s15, 0
	s_mov_b32 s14, -1
	s_or_b32 s1, s1, vcc_lo
	s_and_b32 s1, s1, exec_lo
	s_branch .LBB4_8
.LBB4_7:
	s_mov_b32 s15, -1
	s_mov_b32 s1, 0
	s_mov_b32 s14, 0
.LBB4_8:
	v_add_co_u32 v4, vcc_lo, s8, v1
	v_add_co_ci_u32_e64 v5, null, s9, v2, vcc_lo
	v_add_co_u32 v2, vcc_lo, s6, v7
	v_add_co_ci_u32_e64 v3, null, s7, v8, vcc_lo
	s_andn2_b32 vcc_lo, exec_lo, s15
	s_cbranch_vccz .LBB4_14
; %bb.9:
	s_and_saveexec_b32 s15, s1
	s_xor_b32 s15, exec_lo, s15
	s_cbranch_execnz .LBB4_15
.LBB4_10:
	s_or_b32 exec_lo, exec_lo, s15
	v_ashrrev_i32_e32 v1, 31, v0
	s_and_saveexec_b32 s1, s14
	s_cbranch_execz .LBB4_12
.LBB4_11:
	v_ashrrev_i32_e32 v12, 31, v9
	v_mul_lo_u32 v13, s19, v9
	v_mad_u64_u32 v[7:8], null, s18, v9, 0
	v_mul_lo_u32 v15, s5, v9
	v_mul_lo_u32 v14, s18, v12
	v_mad_u64_u32 v[10:11], null, s4, v9, 0
	v_mul_lo_u32 v12, s4, v12
	v_lshlrev_b64 v[16:17], 3, v[0:1]
	v_add3_u32 v8, v8, v14, v13
	v_add3_u32 v11, v11, v12, v15
	v_lshlrev_b64 v[7:8], 3, v[7:8]
	v_lshlrev_b64 v[10:11], 3, v[10:11]
	v_add_co_u32 v7, vcc_lo, s6, v7
	v_add_co_ci_u32_e64 v8, null, s7, v8, vcc_lo
	v_add_co_u32 v10, vcc_lo, s8, v10
	v_add_co_ci_u32_e64 v11, null, s9, v11, vcc_lo
	flat_load_dwordx2 v[7:8], v[7:8]
	s_clause 0x1
	flat_load_dwordx2 v[10:11], v[10:11]
	flat_load_dwordx2 v[12:13], v[4:5]
	;; [unrolled: 1-line block ×3, first 2 shown]
	v_add_co_u32 v16, vcc_lo, s2, v16
	v_add_co_ci_u32_e64 v17, null, s3, v17, vcc_lo
	flat_load_dwordx2 v[18:19], v[16:17]
	s_waitcnt vmcnt(4) lgkmcnt(4)
	v_mul_f32_e32 v20, s10, v8
	v_mul_f32_e32 v8, s11, v8
	s_waitcnt vmcnt(3) lgkmcnt(3)
	v_mul_f32_e32 v21, s11, v10
	v_mul_f32_e32 v22, s11, v11
	v_fmac_f32_e32 v20, s11, v7
	v_fma_f32 v7, s10, v7, -v8
	v_fma_f32 v8, s10, v11, -v21
	v_fmac_f32_e32 v22, s10, v10
	s_waitcnt vmcnt(2) lgkmcnt(2)
	v_mul_f32_e32 v10, v13, v20
	v_mul_f32_e32 v11, v13, v7
	s_waitcnt vmcnt(1) lgkmcnt(1)
	v_mul_f32_e32 v13, v15, v8
	v_mul_f32_e32 v15, v15, v22
	v_fmac_f32_e32 v10, v12, v7
	v_fma_f32 v7, v12, v20, -v11
	v_fmac_f32_e32 v13, v14, v22
	v_fma_f32 v8, v14, v8, -v15
	v_add_f32_e32 v10, v10, v13
	v_add_f32_e32 v8, v7, v8
	s_waitcnt vmcnt(0) lgkmcnt(0)
	v_add_f32_e32 v7, v18, v10
	v_add_f32_e32 v8, v19, v8
	flat_store_dwordx2 v[16:17], v[7:8]
.LBB4_12:
	s_or_b32 exec_lo, exec_lo, s1
	v_add_nc_u32_e32 v7, 64, v9
	s_andn2_b32 vcc_lo, exec_lo, s12
	v_cmp_gt_i32_e64 s1, s13, v7
	s_cbranch_vccnz .LBB4_18
; %bb.13:
	v_cmp_lt_i32_e32 vcc_lo, v6, v7
	s_and_b32 s1, s1, vcc_lo
	s_xor_b32 s14, s1, -1
	s_and_b32 s1, s1, exec_lo
	s_and_b32 s14, s14, exec_lo
	s_cbranch_execz .LBB4_19
	s_branch .LBB4_20
.LBB4_14:
	v_cmp_lt_i32_e32 vcc_lo, v9, v6
	s_andn2_b32 s14, s14, exec_lo
	s_andn2_b32 s1, s1, exec_lo
	s_and_b32 s15, vcc_lo, s0
	s_xor_b32 s16, s15, -1
	s_and_b32 s15, s15, exec_lo
	s_and_b32 s16, s16, exec_lo
	s_or_b32 s14, s14, s15
	s_or_b32 s1, s1, s16
	s_and_saveexec_b32 s15, s1
	s_xor_b32 s15, exec_lo, s15
	s_cbranch_execz .LBB4_10
.LBB4_15:
	v_cmp_eq_u32_e32 vcc_lo, v9, v6
	v_cmp_gt_i32_e64 s1, s13, v9
	s_and_b32 s16, vcc_lo, s1
	s_and_saveexec_b32 s1, s16
	s_cbranch_execz .LBB4_17
; %bb.16:
	v_ashrrev_i32_e32 v1, 31, v9
	v_mul_lo_u32 v12, s19, v9
	v_mad_u64_u32 v[7:8], null, s18, v9, 0
	v_mul_lo_u32 v14, s5, v9
	v_mul_lo_u32 v13, s18, v1
	v_mad_u64_u32 v[10:11], null, s4, v9, 0
	v_mul_lo_u32 v1, s4, v1
	v_add3_u32 v8, v8, v13, v12
	v_add3_u32 v11, v11, v1, v14
	v_ashrrev_i32_e32 v1, 31, v0
	v_lshlrev_b64 v[7:8], 3, v[7:8]
	v_lshlrev_b64 v[10:11], 3, v[10:11]
	;; [unrolled: 1-line block ×3, first 2 shown]
	v_add_co_u32 v7, vcc_lo, s6, v7
	v_add_co_ci_u32_e64 v8, null, s7, v8, vcc_lo
	v_add_co_u32 v10, vcc_lo, s8, v10
	v_add_co_ci_u32_e64 v11, null, s9, v11, vcc_lo
	flat_load_dwordx2 v[7:8], v[7:8]
	v_add_co_u32 v12, vcc_lo, s2, v12
	s_clause 0x1
	flat_load_dwordx2 v[10:11], v[10:11]
	flat_load_dwordx2 v[14:15], v[4:5]
	;; [unrolled: 1-line block ×3, first 2 shown]
	v_add_co_ci_u32_e64 v13, null, s3, v13, vcc_lo
	flat_load_dword v1, v[12:13]
	s_waitcnt vmcnt(4) lgkmcnt(4)
	v_mul_f32_e32 v18, s10, v8
	v_mul_f32_e32 v8, s11, v8
	s_waitcnt vmcnt(3) lgkmcnt(3)
	v_mul_f32_e32 v19, s11, v10
	v_mul_f32_e32 v20, s11, v11
	v_fmac_f32_e32 v18, s11, v7
	v_fma_f32 v7, s10, v7, -v8
	v_fma_f32 v8, s10, v11, -v19
	v_fmac_f32_e32 v20, s10, v10
	s_waitcnt vmcnt(2) lgkmcnt(2)
	v_mul_f32_e32 v11, v15, v18
	v_mul_f32_e32 v10, v15, v7
	s_waitcnt vmcnt(1) lgkmcnt(1)
	v_mul_f32_e32 v15, v17, v8
	v_fmac_f32_e32 v11, v14, v7
	v_mul_f32_e32 v7, v17, v20
	v_fma_f32 v10, v14, v18, -v10
	v_fmac_f32_e32 v15, v16, v20
	s_waitcnt vmcnt(0) lgkmcnt(0)
	v_add_f32_e32 v1, v1, v11
	v_fma_f32 v8, v16, v8, -v7
	v_add_f32_e32 v7, v1, v15
	v_add_f32_e32 v8, v10, v8
	flat_store_dwordx2 v[12:13], v[7:8]
.LBB4_17:
	s_or_b32 exec_lo, exec_lo, s1
	s_andn2_b32 s14, s14, exec_lo
	s_or_b32 exec_lo, exec_lo, s15
	v_ashrrev_i32_e32 v1, 31, v0
	s_and_saveexec_b32 s1, s14
	s_cbranch_execnz .LBB4_11
	s_branch .LBB4_12
.LBB4_18:
	s_mov_b32 s14, 0
	s_mov_b32 s1, 0
.LBB4_19:
	v_cmp_ge_i32_e32 vcc_lo, v7, v6
	s_xor_b32 s0, s0, -1
	s_andn2_b32 s12, s14, exec_lo
	s_or_b32 s1, s1, exec_lo
	s_or_b32 s0, s0, vcc_lo
	s_and_b32 s0, s0, exec_lo
	s_or_b32 s14, s12, s0
.LBB4_20:
	s_and_saveexec_b32 s12, s14
	s_cbranch_execnz .LBB4_24
; %bb.21:
	s_or_b32 exec_lo, exec_lo, s12
	s_and_saveexec_b32 s0, s1
	s_cbranch_execz .LBB4_23
.LBB4_22:
	v_ashrrev_i32_e32 v10, 31, v7
	v_mul_lo_u32 v11, s19, v7
	v_mad_u64_u32 v[8:9], null, s18, v7, 0
	v_mul_lo_u32 v13, s5, v7
	v_mul_lo_u32 v12, s18, v10
	v_mad_u64_u32 v[6:7], null, s4, v7, 0
	v_mul_lo_u32 v10, s4, v10
	v_lshlrev_b64 v[0:1], 3, v[0:1]
	v_add3_u32 v9, v9, v12, v11
	v_add3_u32 v7, v7, v10, v13
	v_lshlrev_b64 v[8:9], 3, v[8:9]
	v_lshlrev_b64 v[6:7], 3, v[6:7]
	v_add_co_u32 v8, vcc_lo, s6, v8
	v_add_co_ci_u32_e64 v9, null, s7, v9, vcc_lo
	v_add_co_u32 v6, vcc_lo, s8, v6
	v_add_co_ci_u32_e64 v7, null, s9, v7, vcc_lo
	flat_load_dwordx2 v[8:9], v[8:9]
	s_clause 0x1
	flat_load_dwordx2 v[6:7], v[6:7]
	flat_load_dwordx2 v[4:5], v[4:5]
	;; [unrolled: 1-line block ×3, first 2 shown]
	v_add_co_u32 v0, vcc_lo, s2, v0
	v_add_co_ci_u32_e64 v1, null, s3, v1, vcc_lo
	flat_load_dwordx2 v[10:11], v[0:1] offset:512
	s_waitcnt vmcnt(4) lgkmcnt(4)
	v_mul_f32_e32 v12, s10, v9
	v_mul_f32_e32 v9, s11, v9
	s_waitcnt vmcnt(3) lgkmcnt(3)
	v_mul_f32_e32 v13, s11, v6
	v_mul_f32_e32 v14, s11, v7
	v_fmac_f32_e32 v12, s11, v8
	v_fma_f32 v8, s10, v8, -v9
	v_fma_f32 v7, s10, v7, -v13
	v_fmac_f32_e32 v14, s10, v6
	s_waitcnt vmcnt(2) lgkmcnt(2)
	v_mul_f32_e32 v6, v5, v12
	v_mul_f32_e32 v5, v5, v8
	s_waitcnt vmcnt(1) lgkmcnt(1)
	v_mul_f32_e32 v9, v3, v7
	v_mul_f32_e32 v3, v3, v14
	v_fmac_f32_e32 v6, v4, v8
	v_fma_f32 v4, v4, v12, -v5
	v_fmac_f32_e32 v9, v2, v14
	v_fma_f32 v2, v2, v7, -v3
	v_add_f32_e32 v3, v6, v9
	v_add_f32_e32 v4, v4, v2
	s_waitcnt vmcnt(0) lgkmcnt(0)
	v_add_f32_e32 v2, v10, v3
	v_add_f32_e32 v3, v11, v4
	flat_store_dwordx2 v[0:1], v[2:3] offset:512
.LBB4_23:
	s_endpgm
.LBB4_24:
	v_cmp_eq_u32_e32 vcc_lo, v7, v6
	v_cmp_gt_i32_e64 s0, s13, v7
	s_and_b32 s13, vcc_lo, s0
	s_and_saveexec_b32 s0, s13
	s_cbranch_execz .LBB4_26
; %bb.25:
	flat_load_dwordx2 v[8:9], v[2:3]
	flat_load_dwordx2 v[10:11], v[4:5]
	v_lshlrev_b64 v[12:13], 3, v[0:1]
	v_add_co_u32 v12, vcc_lo, s2, v12
	v_add_co_ci_u32_e64 v13, null, s3, v13, vcc_lo
	flat_load_dword v6, v[12:13] offset:512
	s_waitcnt vmcnt(2) lgkmcnt(2)
	v_mul_f32_e32 v14, s10, v9
	v_mul_f32_e32 v15, s11, v9
	s_waitcnt vmcnt(1) lgkmcnt(1)
	v_mul_f32_e32 v16, s11, v10
	v_mul_f32_e32 v17, s11, v11
	v_fmac_f32_e32 v14, s11, v8
	v_fma_f32 v15, s10, v8, -v15
	v_fma_f32 v16, s10, v11, -v16
	v_fmac_f32_e32 v17, s10, v10
	v_mul_f32_e32 v18, v11, v14
	v_mul_f32_e32 v11, v11, v15
	;; [unrolled: 1-line block ×4, first 2 shown]
	v_fmac_f32_e32 v18, v10, v15
	v_fma_f32 v10, v10, v14, -v11
	v_fmac_f32_e32 v19, v8, v17
	v_fma_f32 v9, v8, v16, -v9
	s_waitcnt vmcnt(0) lgkmcnt(0)
	v_add_f32_e32 v6, v6, v18
	v_add_f32_e32 v9, v10, v9
	;; [unrolled: 1-line block ×3, first 2 shown]
	flat_store_dwordx2 v[12:13], v[8:9] offset:512
.LBB4_26:
	s_or_b32 exec_lo, exec_lo, s0
	s_andn2_b32 s1, s1, exec_lo
	s_or_b32 exec_lo, exec_lo, s12
	s_and_saveexec_b32 s0, s1
	s_cbranch_execnz .LBB4_22
	s_branch .LBB4_23
	.section	.rodata,"a",@progbits
	.p2align	6, 0x0
	.amdhsa_kernel _ZL19rocblas_hpr2_kernelILi64ELi16ELi2EPK19rocblas_complex_numIfEPKS3_PKPS1_EvbiT2_T3_lllSA_lllT4_lli
		.amdhsa_group_segment_fixed_size 0
		.amdhsa_private_segment_fixed_size 0
		.amdhsa_kernarg_size 108
		.amdhsa_user_sgpr_count 6
		.amdhsa_user_sgpr_private_segment_buffer 1
		.amdhsa_user_sgpr_dispatch_ptr 0
		.amdhsa_user_sgpr_queue_ptr 0
		.amdhsa_user_sgpr_kernarg_segment_ptr 1
		.amdhsa_user_sgpr_dispatch_id 0
		.amdhsa_user_sgpr_flat_scratch_init 0
		.amdhsa_user_sgpr_private_segment_size 0
		.amdhsa_wavefront_size32 1
		.amdhsa_uses_dynamic_stack 0
		.amdhsa_system_sgpr_private_segment_wavefront_offset 0
		.amdhsa_system_sgpr_workgroup_id_x 1
		.amdhsa_system_sgpr_workgroup_id_y 1
		.amdhsa_system_sgpr_workgroup_id_z 1
		.amdhsa_system_sgpr_workgroup_info 0
		.amdhsa_system_vgpr_workitem_id 1
		.amdhsa_next_free_vgpr 23
		.amdhsa_next_free_sgpr 26
		.amdhsa_reserve_vcc 1
		.amdhsa_reserve_flat_scratch 1
		.amdhsa_float_round_mode_32 0
		.amdhsa_float_round_mode_16_64 0
		.amdhsa_float_denorm_mode_32 3
		.amdhsa_float_denorm_mode_16_64 3
		.amdhsa_dx10_clamp 1
		.amdhsa_ieee_mode 1
		.amdhsa_fp16_overflow 0
		.amdhsa_workgroup_processor_mode 1
		.amdhsa_memory_ordered 1
		.amdhsa_forward_progress 1
		.amdhsa_shared_vgpr_count 0
		.amdhsa_exception_fp_ieee_invalid_op 0
		.amdhsa_exception_fp_denorm_src 0
		.amdhsa_exception_fp_ieee_div_zero 0
		.amdhsa_exception_fp_ieee_overflow 0
		.amdhsa_exception_fp_ieee_underflow 0
		.amdhsa_exception_fp_ieee_inexact 0
		.amdhsa_exception_int_div_zero 0
	.end_amdhsa_kernel
	.section	.text._ZL19rocblas_hpr2_kernelILi64ELi16ELi2EPK19rocblas_complex_numIfEPKS3_PKPS1_EvbiT2_T3_lllSA_lllT4_lli,"axG",@progbits,_ZL19rocblas_hpr2_kernelILi64ELi16ELi2EPK19rocblas_complex_numIfEPKS3_PKPS1_EvbiT2_T3_lllSA_lllT4_lli,comdat
.Lfunc_end4:
	.size	_ZL19rocblas_hpr2_kernelILi64ELi16ELi2EPK19rocblas_complex_numIfEPKS3_PKPS1_EvbiT2_T3_lllSA_lllT4_lli, .Lfunc_end4-_ZL19rocblas_hpr2_kernelILi64ELi16ELi2EPK19rocblas_complex_numIfEPKS3_PKPS1_EvbiT2_T3_lllSA_lllT4_lli
                                        ; -- End function
	.set _ZL19rocblas_hpr2_kernelILi64ELi16ELi2EPK19rocblas_complex_numIfEPKS3_PKPS1_EvbiT2_T3_lllSA_lllT4_lli.num_vgpr, 23
	.set _ZL19rocblas_hpr2_kernelILi64ELi16ELi2EPK19rocblas_complex_numIfEPKS3_PKPS1_EvbiT2_T3_lllSA_lllT4_lli.num_agpr, 0
	.set _ZL19rocblas_hpr2_kernelILi64ELi16ELi2EPK19rocblas_complex_numIfEPKS3_PKPS1_EvbiT2_T3_lllSA_lllT4_lli.numbered_sgpr, 26
	.set _ZL19rocblas_hpr2_kernelILi64ELi16ELi2EPK19rocblas_complex_numIfEPKS3_PKPS1_EvbiT2_T3_lllSA_lllT4_lli.num_named_barrier, 0
	.set _ZL19rocblas_hpr2_kernelILi64ELi16ELi2EPK19rocblas_complex_numIfEPKS3_PKPS1_EvbiT2_T3_lllSA_lllT4_lli.private_seg_size, 0
	.set _ZL19rocblas_hpr2_kernelILi64ELi16ELi2EPK19rocblas_complex_numIfEPKS3_PKPS1_EvbiT2_T3_lllSA_lllT4_lli.uses_vcc, 1
	.set _ZL19rocblas_hpr2_kernelILi64ELi16ELi2EPK19rocblas_complex_numIfEPKS3_PKPS1_EvbiT2_T3_lllSA_lllT4_lli.uses_flat_scratch, 1
	.set _ZL19rocblas_hpr2_kernelILi64ELi16ELi2EPK19rocblas_complex_numIfEPKS3_PKPS1_EvbiT2_T3_lllSA_lllT4_lli.has_dyn_sized_stack, 0
	.set _ZL19rocblas_hpr2_kernelILi64ELi16ELi2EPK19rocblas_complex_numIfEPKS3_PKPS1_EvbiT2_T3_lllSA_lllT4_lli.has_recursion, 0
	.set _ZL19rocblas_hpr2_kernelILi64ELi16ELi2EPK19rocblas_complex_numIfEPKS3_PKPS1_EvbiT2_T3_lllSA_lllT4_lli.has_indirect_call, 0
	.section	.AMDGPU.csdata,"",@progbits
; Kernel info:
; codeLenInByte = 1856
; TotalNumSgprs: 28
; NumVgprs: 23
; ScratchSize: 0
; MemoryBound: 0
; FloatMode: 240
; IeeeMode: 1
; LDSByteSize: 0 bytes/workgroup (compile time only)
; SGPRBlocks: 0
; VGPRBlocks: 2
; NumSGPRsForWavesPerEU: 28
; NumVGPRsForWavesPerEU: 23
; Occupancy: 16
; WaveLimiterHint : 1
; COMPUTE_PGM_RSRC2:SCRATCH_EN: 0
; COMPUTE_PGM_RSRC2:USER_SGPR: 6
; COMPUTE_PGM_RSRC2:TRAP_HANDLER: 0
; COMPUTE_PGM_RSRC2:TGID_X_EN: 1
; COMPUTE_PGM_RSRC2:TGID_Y_EN: 1
; COMPUTE_PGM_RSRC2:TGID_Z_EN: 1
; COMPUTE_PGM_RSRC2:TIDIG_COMP_CNT: 1
	.section	.text._ZL19rocblas_hpr2_kernelILi64ELi16ELi2E19rocblas_complex_numIfEPKPKS1_PKPS1_EvbiT2_T3_lllSA_lllT4_lli,"axG",@progbits,_ZL19rocblas_hpr2_kernelILi64ELi16ELi2E19rocblas_complex_numIfEPKPKS1_PKPS1_EvbiT2_T3_lllSA_lllT4_lli,comdat
	.globl	_ZL19rocblas_hpr2_kernelILi64ELi16ELi2E19rocblas_complex_numIfEPKPKS1_PKPS1_EvbiT2_T3_lllSA_lllT4_lli ; -- Begin function _ZL19rocblas_hpr2_kernelILi64ELi16ELi2E19rocblas_complex_numIfEPKPKS1_PKPS1_EvbiT2_T3_lllSA_lllT4_lli
	.p2align	8
	.type	_ZL19rocblas_hpr2_kernelILi64ELi16ELi2E19rocblas_complex_numIfEPKPKS1_PKPS1_EvbiT2_T3_lllSA_lllT4_lli,@function
_ZL19rocblas_hpr2_kernelILi64ELi16ELi2E19rocblas_complex_numIfEPKPKS1_PKPS1_EvbiT2_T3_lllSA_lllT4_lli: ; @_ZL19rocblas_hpr2_kernelILi64ELi16ELi2E19rocblas_complex_numIfEPKPKS1_PKPS1_EvbiT2_T3_lllSA_lllT4_lli
; %bb.0:
	s_load_dwordx4 s[12:15], s[4:5], 0x0
	s_mov_b32 s9, 0
	s_waitcnt lgkmcnt(0)
	v_cmp_neq_f32_e64 s0, s14, 0
	v_cmp_neq_f32_e64 s1, s15, 0
	s_or_b32 s0, s0, s1
	s_andn2_b32 vcc_lo, exec_lo, s0
	s_cbranch_vccnz .LBB5_23
; %bb.1:
	s_clause 0x2
	s_load_dwordx4 s[20:23], s[4:5], 0x10
	s_load_dwordx4 s[16:19], s[4:5], 0x30
	;; [unrolled: 1-line block ×3, first 2 shown]
	s_bitcmp1_b32 s12, 0
	s_clause 0x1
	s_load_dwordx2 s[10:11], s[4:5], 0x20
	s_load_dwordx2 s[4:5], s[4:5], 0x40
	s_cselect_b32 s12, -1, 0
	s_lshl_b64 s[24:25], s[8:9], 3
	s_xor_b32 s12, s12, -1
	v_lshl_add_u32 v9, s6, 7, v0
	v_lshl_add_u32 v6, s7, 4, v1
	s_mov_b32 s6, -1
                                        ; implicit-def: $vgpr0
	s_waitcnt lgkmcnt(0)
	s_add_u32 s8, s20, s24
	s_addc_u32 s9, s21, s25
	s_add_u32 s16, s16, s24
	s_addc_u32 s17, s17, s25
	;; [unrolled: 2-line block ×3, first 2 shown]
	s_load_dwordx2 s[8:9], s[8:9], 0x0
	s_load_dwordx2 s[16:17], s[16:17], 0x0
	;; [unrolled: 1-line block ×3, first 2 shown]
	s_and_b32 vcc_lo, exec_lo, s12
	s_cbranch_vccz .LBB5_3
; %bb.2:
	s_lshl_b32 s6, s13, 1
	v_sub_nc_u32_e32 v0, s6, v6
	s_mov_b32 s6, 0
	v_mad_u64_u32 v[0:1], null, v6, v0, v[6:7]
	v_lshrrev_b32_e32 v1, 31, v0
	v_add_nc_u32_e32 v0, v0, v1
	v_sub_nc_u32_e32 v1, v9, v6
	v_ashrrev_i32_e32 v0, 1, v0
	v_add_nc_u32_e32 v0, v1, v0
.LBB5_3:
	s_andn2_b32 vcc_lo, exec_lo, s6
	s_cbranch_vccnz .LBB5_5
; %bb.4:
	v_mad_u64_u32 v[0:1], null, v6, v6, v[6:7]
	v_lshrrev_b32_e32 v1, 31, v0
	v_add_nc_u32_e32 v0, v0, v1
	v_ashrrev_i32_e32 v0, 1, v0
	v_add_nc_u32_e32 v0, v0, v9
.LBB5_5:
	v_ashrrev_i32_e32 v3, 31, v6
	v_mul_lo_u32 v5, s5, v6
	v_mad_u64_u32 v[1:2], null, s4, v6, 0
	v_mul_lo_u32 v8, s11, v6
	v_mul_lo_u32 v7, s4, v3
	v_mul_lo_u32 v10, s10, v3
	v_mad_u64_u32 v[3:4], null, s10, v6, 0
	s_lshl_b64 s[6:7], s[22:23], 3
	s_waitcnt lgkmcnt(0)
	s_add_u32 s6, s8, s6
	s_addc_u32 s7, s9, s7
	v_add3_u32 v2, v2, v7, v5
	s_lshl_b64 s[8:9], s[18:19], 3
	v_add3_u32 v4, v4, v10, v8
	s_add_u32 s8, s16, s8
	s_addc_u32 s9, s17, s9
	s_lshl_b64 s[2:3], s[2:3], 3
	v_lshlrev_b64 v[1:2], 3, v[1:2]
	v_lshlrev_b64 v[7:8], 3, v[3:4]
	s_add_u32 s2, s0, s2
	v_cmp_gt_i32_e64 s0, s13, v6
	s_addc_u32 s3, s1, s3
	s_and_b32 vcc_lo, exec_lo, s12
	s_cbranch_vccz .LBB5_7
; %bb.6:
	v_cmp_le_i32_e32 vcc_lo, s13, v9
	v_cmp_le_i32_e64 s1, v9, v6
	s_mov_b32 s17, 0
	s_mov_b32 s16, -1
	s_or_b32 s1, s1, vcc_lo
	s_and_b32 s1, s1, exec_lo
	s_branch .LBB5_8
.LBB5_7:
	s_mov_b32 s17, -1
	s_mov_b32 s1, 0
	s_mov_b32 s16, 0
.LBB5_8:
	v_add_co_u32 v4, vcc_lo, s8, v1
	v_add_co_ci_u32_e64 v5, null, s9, v2, vcc_lo
	v_add_co_u32 v2, vcc_lo, s6, v7
	v_add_co_ci_u32_e64 v3, null, s7, v8, vcc_lo
	s_andn2_b32 vcc_lo, exec_lo, s17
	s_cbranch_vccz .LBB5_14
; %bb.9:
	s_and_saveexec_b32 s17, s1
	s_xor_b32 s17, exec_lo, s17
	s_cbranch_execnz .LBB5_15
.LBB5_10:
	s_or_b32 exec_lo, exec_lo, s17
	v_ashrrev_i32_e32 v1, 31, v0
	s_and_saveexec_b32 s1, s16
	s_cbranch_execz .LBB5_12
.LBB5_11:
	v_ashrrev_i32_e32 v12, 31, v9
	v_mul_lo_u32 v13, s11, v9
	v_mad_u64_u32 v[7:8], null, s10, v9, 0
	v_mul_lo_u32 v15, s5, v9
	v_mul_lo_u32 v14, s10, v12
	v_mad_u64_u32 v[10:11], null, s4, v9, 0
	v_mul_lo_u32 v12, s4, v12
	v_lshlrev_b64 v[16:17], 3, v[0:1]
	v_add3_u32 v8, v8, v14, v13
	v_add3_u32 v11, v11, v12, v15
	v_lshlrev_b64 v[7:8], 3, v[7:8]
	v_lshlrev_b64 v[10:11], 3, v[10:11]
	v_add_co_u32 v7, vcc_lo, s6, v7
	v_add_co_ci_u32_e64 v8, null, s7, v8, vcc_lo
	v_add_co_u32 v10, vcc_lo, s8, v10
	v_add_co_ci_u32_e64 v11, null, s9, v11, vcc_lo
	flat_load_dwordx2 v[7:8], v[7:8]
	s_clause 0x1
	flat_load_dwordx2 v[10:11], v[10:11]
	flat_load_dwordx2 v[12:13], v[4:5]
	;; [unrolled: 1-line block ×3, first 2 shown]
	v_add_co_u32 v16, vcc_lo, s2, v16
	v_add_co_ci_u32_e64 v17, null, s3, v17, vcc_lo
	flat_load_dwordx2 v[18:19], v[16:17]
	s_waitcnt vmcnt(4) lgkmcnt(4)
	v_mul_f32_e32 v20, s14, v8
	v_mul_f32_e32 v8, s15, v8
	s_waitcnt vmcnt(3) lgkmcnt(3)
	v_mul_f32_e32 v21, s15, v10
	v_mul_f32_e32 v22, s15, v11
	v_fmac_f32_e32 v20, s15, v7
	v_fma_f32 v7, s14, v7, -v8
	v_fma_f32 v8, s14, v11, -v21
	v_fmac_f32_e32 v22, s14, v10
	s_waitcnt vmcnt(2) lgkmcnt(2)
	v_mul_f32_e32 v10, v13, v20
	v_mul_f32_e32 v11, v13, v7
	s_waitcnt vmcnt(1) lgkmcnt(1)
	v_mul_f32_e32 v13, v15, v8
	v_mul_f32_e32 v15, v15, v22
	v_fmac_f32_e32 v10, v12, v7
	v_fma_f32 v7, v12, v20, -v11
	v_fmac_f32_e32 v13, v14, v22
	v_fma_f32 v8, v14, v8, -v15
	v_add_f32_e32 v10, v10, v13
	v_add_f32_e32 v8, v7, v8
	s_waitcnt vmcnt(0) lgkmcnt(0)
	v_add_f32_e32 v7, v18, v10
	v_add_f32_e32 v8, v19, v8
	flat_store_dwordx2 v[16:17], v[7:8]
.LBB5_12:
	s_or_b32 exec_lo, exec_lo, s1
	v_add_nc_u32_e32 v7, 64, v9
	s_andn2_b32 vcc_lo, exec_lo, s12
	v_cmp_gt_i32_e64 s1, s13, v7
	s_cbranch_vccnz .LBB5_18
; %bb.13:
	v_cmp_lt_i32_e32 vcc_lo, v6, v7
	s_and_b32 s1, s1, vcc_lo
	s_xor_b32 s16, s1, -1
	s_and_b32 s1, s1, exec_lo
	s_and_b32 s16, s16, exec_lo
	s_cbranch_execz .LBB5_19
	s_branch .LBB5_20
.LBB5_14:
	v_cmp_lt_i32_e32 vcc_lo, v9, v6
	s_andn2_b32 s16, s16, exec_lo
	s_andn2_b32 s1, s1, exec_lo
	s_and_b32 s17, vcc_lo, s0
	s_xor_b32 s18, s17, -1
	s_and_b32 s17, s17, exec_lo
	s_and_b32 s18, s18, exec_lo
	s_or_b32 s16, s16, s17
	s_or_b32 s1, s1, s18
	s_and_saveexec_b32 s17, s1
	s_xor_b32 s17, exec_lo, s17
	s_cbranch_execz .LBB5_10
.LBB5_15:
	v_cmp_eq_u32_e32 vcc_lo, v9, v6
	v_cmp_gt_i32_e64 s1, s13, v9
	s_and_b32 s18, vcc_lo, s1
	s_and_saveexec_b32 s1, s18
	s_cbranch_execz .LBB5_17
; %bb.16:
	v_ashrrev_i32_e32 v1, 31, v9
	v_mul_lo_u32 v12, s11, v9
	v_mad_u64_u32 v[7:8], null, s10, v9, 0
	v_mul_lo_u32 v14, s5, v9
	v_mul_lo_u32 v13, s10, v1
	v_mad_u64_u32 v[10:11], null, s4, v9, 0
	v_mul_lo_u32 v1, s4, v1
	v_add3_u32 v8, v8, v13, v12
	v_add3_u32 v11, v11, v1, v14
	v_ashrrev_i32_e32 v1, 31, v0
	v_lshlrev_b64 v[7:8], 3, v[7:8]
	v_lshlrev_b64 v[10:11], 3, v[10:11]
	;; [unrolled: 1-line block ×3, first 2 shown]
	v_add_co_u32 v7, vcc_lo, s6, v7
	v_add_co_ci_u32_e64 v8, null, s7, v8, vcc_lo
	v_add_co_u32 v10, vcc_lo, s8, v10
	v_add_co_ci_u32_e64 v11, null, s9, v11, vcc_lo
	flat_load_dwordx2 v[7:8], v[7:8]
	v_add_co_u32 v12, vcc_lo, s2, v12
	s_clause 0x1
	flat_load_dwordx2 v[10:11], v[10:11]
	flat_load_dwordx2 v[14:15], v[4:5]
	flat_load_dwordx2 v[16:17], v[2:3]
	v_add_co_ci_u32_e64 v13, null, s3, v13, vcc_lo
	flat_load_dword v1, v[12:13]
	s_waitcnt vmcnt(4) lgkmcnt(4)
	v_mul_f32_e32 v18, s14, v8
	v_mul_f32_e32 v8, s15, v8
	s_waitcnt vmcnt(3) lgkmcnt(3)
	v_mul_f32_e32 v19, s15, v10
	v_mul_f32_e32 v20, s15, v11
	v_fmac_f32_e32 v18, s15, v7
	v_fma_f32 v7, s14, v7, -v8
	v_fma_f32 v8, s14, v11, -v19
	v_fmac_f32_e32 v20, s14, v10
	s_waitcnt vmcnt(2) lgkmcnt(2)
	v_mul_f32_e32 v11, v15, v18
	v_mul_f32_e32 v10, v15, v7
	s_waitcnt vmcnt(1) lgkmcnt(1)
	v_mul_f32_e32 v15, v17, v8
	v_fmac_f32_e32 v11, v14, v7
	v_mul_f32_e32 v7, v17, v20
	v_fma_f32 v10, v14, v18, -v10
	v_fmac_f32_e32 v15, v16, v20
	s_waitcnt vmcnt(0) lgkmcnt(0)
	v_add_f32_e32 v1, v1, v11
	v_fma_f32 v8, v16, v8, -v7
	v_add_f32_e32 v7, v1, v15
	v_add_f32_e32 v8, v10, v8
	flat_store_dwordx2 v[12:13], v[7:8]
.LBB5_17:
	s_or_b32 exec_lo, exec_lo, s1
	s_andn2_b32 s16, s16, exec_lo
	s_or_b32 exec_lo, exec_lo, s17
	v_ashrrev_i32_e32 v1, 31, v0
	s_and_saveexec_b32 s1, s16
	s_cbranch_execnz .LBB5_11
	s_branch .LBB5_12
.LBB5_18:
	s_mov_b32 s16, 0
	s_mov_b32 s1, 0
.LBB5_19:
	v_cmp_ge_i32_e32 vcc_lo, v7, v6
	s_xor_b32 s0, s0, -1
	s_andn2_b32 s12, s16, exec_lo
	s_or_b32 s1, s1, exec_lo
	s_or_b32 s0, s0, vcc_lo
	s_and_b32 s0, s0, exec_lo
	s_or_b32 s16, s12, s0
.LBB5_20:
	s_and_saveexec_b32 s12, s16
	s_cbranch_execnz .LBB5_24
; %bb.21:
	s_or_b32 exec_lo, exec_lo, s12
	s_and_saveexec_b32 s0, s1
	s_cbranch_execz .LBB5_23
.LBB5_22:
	v_ashrrev_i32_e32 v10, 31, v7
	v_mul_lo_u32 v11, s11, v7
	v_mad_u64_u32 v[8:9], null, s10, v7, 0
	v_mul_lo_u32 v13, s5, v7
	v_mul_lo_u32 v12, s10, v10
	v_mad_u64_u32 v[6:7], null, s4, v7, 0
	v_mul_lo_u32 v10, s4, v10
	v_lshlrev_b64 v[0:1], 3, v[0:1]
	v_add3_u32 v9, v9, v12, v11
	v_add3_u32 v7, v7, v10, v13
	v_lshlrev_b64 v[8:9], 3, v[8:9]
	v_lshlrev_b64 v[6:7], 3, v[6:7]
	v_add_co_u32 v8, vcc_lo, s6, v8
	v_add_co_ci_u32_e64 v9, null, s7, v9, vcc_lo
	v_add_co_u32 v6, vcc_lo, s8, v6
	v_add_co_ci_u32_e64 v7, null, s9, v7, vcc_lo
	flat_load_dwordx2 v[8:9], v[8:9]
	s_clause 0x1
	flat_load_dwordx2 v[6:7], v[6:7]
	flat_load_dwordx2 v[4:5], v[4:5]
	;; [unrolled: 1-line block ×3, first 2 shown]
	v_add_co_u32 v0, vcc_lo, s2, v0
	v_add_co_ci_u32_e64 v1, null, s3, v1, vcc_lo
	flat_load_dwordx2 v[10:11], v[0:1] offset:512
	s_waitcnt vmcnt(4) lgkmcnt(4)
	v_mul_f32_e32 v12, s14, v9
	v_mul_f32_e32 v9, s15, v9
	s_waitcnt vmcnt(3) lgkmcnt(3)
	v_mul_f32_e32 v13, s15, v6
	v_mul_f32_e32 v14, s15, v7
	v_fmac_f32_e32 v12, s15, v8
	v_fma_f32 v8, s14, v8, -v9
	v_fma_f32 v7, s14, v7, -v13
	v_fmac_f32_e32 v14, s14, v6
	s_waitcnt vmcnt(2) lgkmcnt(2)
	v_mul_f32_e32 v6, v5, v12
	v_mul_f32_e32 v5, v5, v8
	s_waitcnt vmcnt(1) lgkmcnt(1)
	v_mul_f32_e32 v9, v3, v7
	v_mul_f32_e32 v3, v3, v14
	v_fmac_f32_e32 v6, v4, v8
	v_fma_f32 v4, v4, v12, -v5
	v_fmac_f32_e32 v9, v2, v14
	v_fma_f32 v2, v2, v7, -v3
	v_add_f32_e32 v3, v6, v9
	v_add_f32_e32 v4, v4, v2
	s_waitcnt vmcnt(0) lgkmcnt(0)
	v_add_f32_e32 v2, v10, v3
	v_add_f32_e32 v3, v11, v4
	flat_store_dwordx2 v[0:1], v[2:3] offset:512
.LBB5_23:
	s_endpgm
.LBB5_24:
	v_cmp_eq_u32_e32 vcc_lo, v7, v6
	v_cmp_gt_i32_e64 s0, s13, v7
	s_and_b32 s13, vcc_lo, s0
	s_and_saveexec_b32 s0, s13
	s_cbranch_execz .LBB5_26
; %bb.25:
	flat_load_dwordx2 v[8:9], v[2:3]
	flat_load_dwordx2 v[10:11], v[4:5]
	v_lshlrev_b64 v[12:13], 3, v[0:1]
	v_add_co_u32 v12, vcc_lo, s2, v12
	v_add_co_ci_u32_e64 v13, null, s3, v13, vcc_lo
	flat_load_dword v6, v[12:13] offset:512
	s_waitcnt vmcnt(2) lgkmcnt(2)
	v_mul_f32_e32 v14, s14, v9
	v_mul_f32_e32 v15, s15, v9
	s_waitcnt vmcnt(1) lgkmcnt(1)
	v_mul_f32_e32 v16, s15, v10
	v_mul_f32_e32 v17, s15, v11
	v_fmac_f32_e32 v14, s15, v8
	v_fma_f32 v15, s14, v8, -v15
	v_fma_f32 v16, s14, v11, -v16
	v_fmac_f32_e32 v17, s14, v10
	v_mul_f32_e32 v18, v11, v14
	v_mul_f32_e32 v11, v11, v15
	;; [unrolled: 1-line block ×4, first 2 shown]
	v_fmac_f32_e32 v18, v10, v15
	v_fma_f32 v10, v10, v14, -v11
	v_fmac_f32_e32 v19, v8, v17
	v_fma_f32 v9, v8, v16, -v9
	s_waitcnt vmcnt(0) lgkmcnt(0)
	v_add_f32_e32 v6, v6, v18
	v_add_f32_e32 v9, v10, v9
	;; [unrolled: 1-line block ×3, first 2 shown]
	flat_store_dwordx2 v[12:13], v[8:9] offset:512
.LBB5_26:
	s_or_b32 exec_lo, exec_lo, s0
	s_andn2_b32 s1, s1, exec_lo
	s_or_b32 exec_lo, exec_lo, s12
	s_and_saveexec_b32 s0, s1
	s_cbranch_execnz .LBB5_22
	s_branch .LBB5_23
	.section	.rodata,"a",@progbits
	.p2align	6, 0x0
	.amdhsa_kernel _ZL19rocblas_hpr2_kernelILi64ELi16ELi2E19rocblas_complex_numIfEPKPKS1_PKPS1_EvbiT2_T3_lllSA_lllT4_lli
		.amdhsa_group_segment_fixed_size 0
		.amdhsa_private_segment_fixed_size 0
		.amdhsa_kernarg_size 108
		.amdhsa_user_sgpr_count 6
		.amdhsa_user_sgpr_private_segment_buffer 1
		.amdhsa_user_sgpr_dispatch_ptr 0
		.amdhsa_user_sgpr_queue_ptr 0
		.amdhsa_user_sgpr_kernarg_segment_ptr 1
		.amdhsa_user_sgpr_dispatch_id 0
		.amdhsa_user_sgpr_flat_scratch_init 0
		.amdhsa_user_sgpr_private_segment_size 0
		.amdhsa_wavefront_size32 1
		.amdhsa_uses_dynamic_stack 0
		.amdhsa_system_sgpr_private_segment_wavefront_offset 0
		.amdhsa_system_sgpr_workgroup_id_x 1
		.amdhsa_system_sgpr_workgroup_id_y 1
		.amdhsa_system_sgpr_workgroup_id_z 1
		.amdhsa_system_sgpr_workgroup_info 0
		.amdhsa_system_vgpr_workitem_id 1
		.amdhsa_next_free_vgpr 23
		.amdhsa_next_free_sgpr 26
		.amdhsa_reserve_vcc 1
		.amdhsa_reserve_flat_scratch 1
		.amdhsa_float_round_mode_32 0
		.amdhsa_float_round_mode_16_64 0
		.amdhsa_float_denorm_mode_32 3
		.amdhsa_float_denorm_mode_16_64 3
		.amdhsa_dx10_clamp 1
		.amdhsa_ieee_mode 1
		.amdhsa_fp16_overflow 0
		.amdhsa_workgroup_processor_mode 1
		.amdhsa_memory_ordered 1
		.amdhsa_forward_progress 1
		.amdhsa_shared_vgpr_count 0
		.amdhsa_exception_fp_ieee_invalid_op 0
		.amdhsa_exception_fp_denorm_src 0
		.amdhsa_exception_fp_ieee_div_zero 0
		.amdhsa_exception_fp_ieee_overflow 0
		.amdhsa_exception_fp_ieee_underflow 0
		.amdhsa_exception_fp_ieee_inexact 0
		.amdhsa_exception_int_div_zero 0
	.end_amdhsa_kernel
	.section	.text._ZL19rocblas_hpr2_kernelILi64ELi16ELi2E19rocblas_complex_numIfEPKPKS1_PKPS1_EvbiT2_T3_lllSA_lllT4_lli,"axG",@progbits,_ZL19rocblas_hpr2_kernelILi64ELi16ELi2E19rocblas_complex_numIfEPKPKS1_PKPS1_EvbiT2_T3_lllSA_lllT4_lli,comdat
.Lfunc_end5:
	.size	_ZL19rocblas_hpr2_kernelILi64ELi16ELi2E19rocblas_complex_numIfEPKPKS1_PKPS1_EvbiT2_T3_lllSA_lllT4_lli, .Lfunc_end5-_ZL19rocblas_hpr2_kernelILi64ELi16ELi2E19rocblas_complex_numIfEPKPKS1_PKPS1_EvbiT2_T3_lllSA_lllT4_lli
                                        ; -- End function
	.set _ZL19rocblas_hpr2_kernelILi64ELi16ELi2E19rocblas_complex_numIfEPKPKS1_PKPS1_EvbiT2_T3_lllSA_lllT4_lli.num_vgpr, 23
	.set _ZL19rocblas_hpr2_kernelILi64ELi16ELi2E19rocblas_complex_numIfEPKPKS1_PKPS1_EvbiT2_T3_lllSA_lllT4_lli.num_agpr, 0
	.set _ZL19rocblas_hpr2_kernelILi64ELi16ELi2E19rocblas_complex_numIfEPKPKS1_PKPS1_EvbiT2_T3_lllSA_lllT4_lli.numbered_sgpr, 26
	.set _ZL19rocblas_hpr2_kernelILi64ELi16ELi2E19rocblas_complex_numIfEPKPKS1_PKPS1_EvbiT2_T3_lllSA_lllT4_lli.num_named_barrier, 0
	.set _ZL19rocblas_hpr2_kernelILi64ELi16ELi2E19rocblas_complex_numIfEPKPKS1_PKPS1_EvbiT2_T3_lllSA_lllT4_lli.private_seg_size, 0
	.set _ZL19rocblas_hpr2_kernelILi64ELi16ELi2E19rocblas_complex_numIfEPKPKS1_PKPS1_EvbiT2_T3_lllSA_lllT4_lli.uses_vcc, 1
	.set _ZL19rocblas_hpr2_kernelILi64ELi16ELi2E19rocblas_complex_numIfEPKPKS1_PKPS1_EvbiT2_T3_lllSA_lllT4_lli.uses_flat_scratch, 1
	.set _ZL19rocblas_hpr2_kernelILi64ELi16ELi2E19rocblas_complex_numIfEPKPKS1_PKPS1_EvbiT2_T3_lllSA_lllT4_lli.has_dyn_sized_stack, 0
	.set _ZL19rocblas_hpr2_kernelILi64ELi16ELi2E19rocblas_complex_numIfEPKPKS1_PKPS1_EvbiT2_T3_lllSA_lllT4_lli.has_recursion, 0
	.set _ZL19rocblas_hpr2_kernelILi64ELi16ELi2E19rocblas_complex_numIfEPKPKS1_PKPS1_EvbiT2_T3_lllSA_lllT4_lli.has_indirect_call, 0
	.section	.AMDGPU.csdata,"",@progbits
; Kernel info:
; codeLenInByte = 1856
; TotalNumSgprs: 28
; NumVgprs: 23
; ScratchSize: 0
; MemoryBound: 0
; FloatMode: 240
; IeeeMode: 1
; LDSByteSize: 0 bytes/workgroup (compile time only)
; SGPRBlocks: 0
; VGPRBlocks: 2
; NumSGPRsForWavesPerEU: 28
; NumVGPRsForWavesPerEU: 23
; Occupancy: 16
; WaveLimiterHint : 1
; COMPUTE_PGM_RSRC2:SCRATCH_EN: 0
; COMPUTE_PGM_RSRC2:USER_SGPR: 6
; COMPUTE_PGM_RSRC2:TRAP_HANDLER: 0
; COMPUTE_PGM_RSRC2:TGID_X_EN: 1
; COMPUTE_PGM_RSRC2:TGID_Y_EN: 1
; COMPUTE_PGM_RSRC2:TGID_Z_EN: 1
; COMPUTE_PGM_RSRC2:TIDIG_COMP_CNT: 1
	.section	.text._ZL19rocblas_hpr2_kernelILi64ELi16ELi2EPK19rocblas_complex_numIdEPKS3_PKPS1_EvbiT2_T3_lllSA_lllT4_lli,"axG",@progbits,_ZL19rocblas_hpr2_kernelILi64ELi16ELi2EPK19rocblas_complex_numIdEPKS3_PKPS1_EvbiT2_T3_lllSA_lllT4_lli,comdat
	.globl	_ZL19rocblas_hpr2_kernelILi64ELi16ELi2EPK19rocblas_complex_numIdEPKS3_PKPS1_EvbiT2_T3_lllSA_lllT4_lli ; -- Begin function _ZL19rocblas_hpr2_kernelILi64ELi16ELi2EPK19rocblas_complex_numIdEPKS3_PKPS1_EvbiT2_T3_lllSA_lllT4_lli
	.p2align	8
	.type	_ZL19rocblas_hpr2_kernelILi64ELi16ELi2EPK19rocblas_complex_numIdEPKS3_PKPS1_EvbiT2_T3_lllSA_lllT4_lli,@function
_ZL19rocblas_hpr2_kernelILi64ELi16ELi2EPK19rocblas_complex_numIdEPKS3_PKPS1_EvbiT2_T3_lllSA_lllT4_lli: ; @_ZL19rocblas_hpr2_kernelILi64ELi16ELi2EPK19rocblas_complex_numIdEPKS3_PKPS1_EvbiT2_T3_lllSA_lllT4_lli
; %bb.0:
	s_load_dwordx8 s[12:19], s[4:5], 0x8
	s_waitcnt lgkmcnt(0)
	s_load_dwordx4 s[20:23], s[12:13], 0x0
	s_waitcnt lgkmcnt(0)
	v_cmp_neq_f64_e64 s0, s[20:21], 0
	v_cmp_neq_f64_e64 s1, s[22:23], 0
	s_or_b32 s0, s0, s1
	s_andn2_b32 vcc_lo, exec_lo, s0
	s_cbranch_vccnz .LBB6_23
; %bb.1:
	s_clause 0x3
	s_load_dwordx2 s[10:11], s[4:5], 0x0
	s_load_dwordx4 s[0:3], s[4:5], 0x30
	s_load_dwordx4 s[24:27], s[4:5], 0x50
	s_load_dwordx2 s[4:5], s[4:5], 0x40
	s_mov_b32 s9, 0
	v_lshl_add_u32 v9, s6, 7, v0
	v_lshl_add_u32 v6, s7, 4, v1
	s_mov_b32 s6, -1
                                        ; implicit-def: $vgpr0
	s_waitcnt lgkmcnt(0)
	s_bitcmp1_b32 s10, 0
	s_cselect_b32 s10, -1, 0
	s_lshl_b64 s[12:13], s[8:9], 3
	s_xor_b32 s10, s10, -1
	s_add_u32 s8, s14, s12
	s_addc_u32 s9, s15, s13
	s_add_u32 s0, s0, s12
	s_addc_u32 s1, s1, s13
	;; [unrolled: 2-line block ×3, first 2 shown]
	s_load_dwordx2 s[8:9], s[8:9], 0x0
	s_load_dwordx2 s[12:13], s[0:1], 0x0
	;; [unrolled: 1-line block ×3, first 2 shown]
	s_and_b32 vcc_lo, exec_lo, s10
	s_cbranch_vccz .LBB6_3
; %bb.2:
	s_lshl_b32 s6, s11, 1
	v_sub_nc_u32_e32 v0, s6, v6
	s_mov_b32 s6, 0
	v_mad_u64_u32 v[0:1], null, v6, v0, v[6:7]
	v_lshrrev_b32_e32 v1, 31, v0
	v_add_nc_u32_e32 v0, v0, v1
	v_sub_nc_u32_e32 v1, v9, v6
	v_ashrrev_i32_e32 v0, 1, v0
	v_add_nc_u32_e32 v0, v1, v0
.LBB6_3:
	s_andn2_b32 vcc_lo, exec_lo, s6
	s_cbranch_vccnz .LBB6_5
; %bb.4:
	v_mad_u64_u32 v[0:1], null, v6, v6, v[6:7]
	v_lshrrev_b32_e32 v1, 31, v0
	v_add_nc_u32_e32 v0, v0, v1
	v_ashrrev_i32_e32 v0, 1, v0
	v_add_nc_u32_e32 v0, v0, v9
.LBB6_5:
	v_ashrrev_i32_e32 v3, 31, v6
	v_mul_lo_u32 v5, s5, v6
	v_mad_u64_u32 v[1:2], null, s4, v6, 0
	v_mul_lo_u32 v8, s19, v6
	v_mul_lo_u32 v7, s4, v3
	;; [unrolled: 1-line block ×3, first 2 shown]
	v_mad_u64_u32 v[3:4], null, s18, v6, 0
	s_lshl_b64 s[6:7], s[16:17], 4
	s_waitcnt lgkmcnt(0)
	s_add_u32 s6, s8, s6
	s_addc_u32 s7, s9, s7
	v_add3_u32 v2, v2, v7, v5
	s_lshl_b64 s[2:3], s[2:3], 4
	v_add3_u32 v4, v4, v10, v8
	s_add_u32 s8, s12, s2
	s_addc_u32 s9, s13, s3
	s_lshl_b64 s[2:3], s[26:27], 4
	v_lshlrev_b64 v[1:2], 4, v[1:2]
	v_lshlrev_b64 v[7:8], 4, v[3:4]
	s_add_u32 s2, s0, s2
	v_cmp_gt_i32_e64 s0, s11, v6
	s_addc_u32 s3, s1, s3
	s_and_b32 vcc_lo, exec_lo, s10
	s_cbranch_vccz .LBB6_7
; %bb.6:
	v_cmp_le_i32_e32 vcc_lo, s11, v9
	v_cmp_le_i32_e64 s1, v9, v6
	s_mov_b32 s13, 0
	s_mov_b32 s12, -1
	s_or_b32 s1, s1, vcc_lo
	s_and_b32 s1, s1, exec_lo
	s_branch .LBB6_8
.LBB6_7:
	s_mov_b32 s13, -1
	s_mov_b32 s1, 0
	s_mov_b32 s12, 0
.LBB6_8:
	v_add_co_u32 v4, vcc_lo, s8, v1
	v_add_co_ci_u32_e64 v5, null, s9, v2, vcc_lo
	v_add_co_u32 v2, vcc_lo, s6, v7
	v_add_co_ci_u32_e64 v3, null, s7, v8, vcc_lo
	s_andn2_b32 vcc_lo, exec_lo, s13
	s_cbranch_vccz .LBB6_14
; %bb.9:
	s_and_saveexec_b32 s13, s1
	s_xor_b32 s13, exec_lo, s13
	s_cbranch_execnz .LBB6_15
.LBB6_10:
	s_or_b32 exec_lo, exec_lo, s13
	v_ashrrev_i32_e32 v1, 31, v0
	s_and_saveexec_b32 s1, s12
	s_cbranch_execz .LBB6_12
.LBB6_11:
	v_ashrrev_i32_e32 v12, 31, v9
	v_mul_lo_u32 v13, s19, v9
	v_mad_u64_u32 v[7:8], null, s18, v9, 0
	v_mul_lo_u32 v15, s5, v9
	v_mul_lo_u32 v14, s18, v12
	v_mad_u64_u32 v[10:11], null, s4, v9, 0
	v_mul_lo_u32 v12, s4, v12
	v_add3_u32 v8, v8, v14, v13
	v_add3_u32 v11, v11, v12, v15
	v_lshlrev_b64 v[7:8], 4, v[7:8]
	v_lshlrev_b64 v[10:11], 4, v[10:11]
	v_add_co_u32 v7, vcc_lo, s6, v7
	v_add_co_ci_u32_e64 v8, null, s7, v8, vcc_lo
	v_add_co_u32 v14, vcc_lo, s8, v10
	v_add_co_ci_u32_e64 v15, null, s9, v11, vcc_lo
	flat_load_dwordx4 v[10:13], v[7:8]
	s_clause 0x1
	flat_load_dwordx4 v[14:17], v[14:15]
	flat_load_dwordx4 v[18:21], v[4:5]
	;; [unrolled: 1-line block ×3, first 2 shown]
	v_lshlrev_b64 v[7:8], 4, v[0:1]
	v_add_co_u32 v7, vcc_lo, s2, v7
	v_add_co_ci_u32_e64 v8, null, s3, v8, vcc_lo
	flat_load_dwordx4 v[26:29], v[7:8]
	s_waitcnt vmcnt(4) lgkmcnt(4)
	v_mul_f64 v[30:31], s[20:21], v[12:13]
	v_mul_f64 v[12:13], s[22:23], v[12:13]
	s_waitcnt vmcnt(3) lgkmcnt(3)
	v_mul_f64 v[32:33], s[22:23], v[14:15]
	v_mul_f64 v[34:35], s[22:23], v[16:17]
	v_fma_f64 v[30:31], s[22:23], v[10:11], v[30:31]
	v_fma_f64 v[10:11], s[20:21], v[10:11], -v[12:13]
	v_fma_f64 v[12:13], s[20:21], v[16:17], -v[32:33]
	v_fma_f64 v[14:15], s[20:21], v[14:15], v[34:35]
	s_waitcnt vmcnt(2) lgkmcnt(2)
	v_mul_f64 v[16:17], v[20:21], v[30:31]
	v_mul_f64 v[20:21], v[20:21], v[10:11]
	s_waitcnt vmcnt(1) lgkmcnt(1)
	v_mul_f64 v[32:33], v[24:25], v[12:13]
	v_mul_f64 v[24:25], v[24:25], v[14:15]
	v_fma_f64 v[10:11], v[18:19], v[10:11], v[16:17]
	v_fma_f64 v[16:17], v[18:19], v[30:31], -v[20:21]
	v_fma_f64 v[14:15], v[22:23], v[14:15], v[32:33]
	v_fma_f64 v[12:13], v[22:23], v[12:13], -v[24:25]
	v_add_f64 v[10:11], v[10:11], v[14:15]
	v_add_f64 v[12:13], v[16:17], v[12:13]
	s_waitcnt vmcnt(0) lgkmcnt(0)
	v_add_f64 v[10:11], v[26:27], v[10:11]
	v_add_f64 v[12:13], v[28:29], v[12:13]
	flat_store_dwordx4 v[7:8], v[10:13]
.LBB6_12:
	s_or_b32 exec_lo, exec_lo, s1
	v_add_nc_u32_e32 v7, 64, v9
	s_andn2_b32 vcc_lo, exec_lo, s10
	v_cmp_gt_i32_e64 s1, s11, v7
	s_cbranch_vccnz .LBB6_18
; %bb.13:
	v_cmp_lt_i32_e32 vcc_lo, v6, v7
	s_and_b32 s1, s1, vcc_lo
	s_xor_b32 s12, s1, -1
	s_and_b32 s1, s1, exec_lo
	s_and_b32 s12, s12, exec_lo
	s_cbranch_execz .LBB6_19
	s_branch .LBB6_20
.LBB6_14:
	v_cmp_lt_i32_e32 vcc_lo, v9, v6
	s_andn2_b32 s12, s12, exec_lo
	s_andn2_b32 s1, s1, exec_lo
	s_and_b32 s13, vcc_lo, s0
	s_xor_b32 s14, s13, -1
	s_and_b32 s13, s13, exec_lo
	s_and_b32 s14, s14, exec_lo
	s_or_b32 s12, s12, s13
	s_or_b32 s1, s1, s14
	s_and_saveexec_b32 s13, s1
	s_xor_b32 s13, exec_lo, s13
	s_cbranch_execz .LBB6_10
.LBB6_15:
	v_cmp_eq_u32_e32 vcc_lo, v9, v6
	v_cmp_gt_i32_e64 s1, s11, v9
	s_and_b32 s14, vcc_lo, s1
	s_and_saveexec_b32 s1, s14
	s_cbranch_execz .LBB6_17
; %bb.16:
	v_ashrrev_i32_e32 v1, 31, v9
	v_mul_lo_u32 v10, s19, v9
	v_mad_u64_u32 v[7:8], null, s18, v9, 0
	v_mul_lo_u32 v16, s5, v9
	v_mul_lo_u32 v11, s18, v1
	v_mad_u64_u32 v[14:15], null, s4, v9, 0
	v_mul_lo_u32 v1, s4, v1
	v_add3_u32 v8, v8, v11, v10
	v_add3_u32 v15, v15, v1, v16
	v_ashrrev_i32_e32 v1, 31, v0
	v_lshlrev_b64 v[7:8], 4, v[7:8]
	v_add_co_u32 v7, vcc_lo, s6, v7
	v_add_co_ci_u32_e64 v8, null, s7, v8, vcc_lo
	flat_load_dwordx4 v[10:13], v[7:8]
	v_lshlrev_b64 v[7:8], 4, v[14:15]
	v_add_co_u32 v7, vcc_lo, s8, v7
	v_add_co_ci_u32_e64 v8, null, s9, v8, vcc_lo
	s_clause 0x1
	flat_load_dwordx4 v[14:17], v[7:8]
	flat_load_dwordx4 v[18:21], v[4:5]
	;; [unrolled: 1-line block ×3, first 2 shown]
	v_lshlrev_b64 v[7:8], 4, v[0:1]
	v_add_co_u32 v7, vcc_lo, s2, v7
	v_add_co_ci_u32_e64 v8, null, s3, v8, vcc_lo
	flat_load_dwordx2 v[26:27], v[7:8]
	s_waitcnt vmcnt(4) lgkmcnt(4)
	v_mul_f64 v[28:29], s[20:21], v[12:13]
	v_mul_f64 v[12:13], s[22:23], v[12:13]
	s_waitcnt vmcnt(3) lgkmcnt(3)
	v_mul_f64 v[30:31], s[22:23], v[14:15]
	v_mul_f64 v[32:33], s[22:23], v[16:17]
	v_fma_f64 v[28:29], s[22:23], v[10:11], v[28:29]
	v_fma_f64 v[10:11], s[20:21], v[10:11], -v[12:13]
	v_fma_f64 v[12:13], s[20:21], v[16:17], -v[30:31]
	v_fma_f64 v[14:15], s[20:21], v[14:15], v[32:33]
	s_waitcnt vmcnt(2) lgkmcnt(2)
	v_mul_f64 v[16:17], v[20:21], v[28:29]
	v_mul_f64 v[20:21], v[20:21], v[10:11]
	s_waitcnt vmcnt(1) lgkmcnt(1)
	v_mul_f64 v[30:31], v[24:25], v[12:13]
	v_fma_f64 v[10:11], v[18:19], v[10:11], v[16:17]
	v_mul_f64 v[16:17], v[24:25], v[14:15]
	v_fma_f64 v[18:19], v[18:19], v[28:29], -v[20:21]
	v_fma_f64 v[14:15], v[22:23], v[14:15], v[30:31]
	s_waitcnt vmcnt(0) lgkmcnt(0)
	v_add_f64 v[10:11], v[26:27], v[10:11]
	v_fma_f64 v[12:13], v[22:23], v[12:13], -v[16:17]
	v_add_f64 v[10:11], v[10:11], v[14:15]
	v_add_f64 v[12:13], v[18:19], v[12:13]
	flat_store_dwordx4 v[7:8], v[10:13]
.LBB6_17:
	s_or_b32 exec_lo, exec_lo, s1
	s_andn2_b32 s12, s12, exec_lo
	s_or_b32 exec_lo, exec_lo, s13
	v_ashrrev_i32_e32 v1, 31, v0
	s_and_saveexec_b32 s1, s12
	s_cbranch_execnz .LBB6_11
	s_branch .LBB6_12
.LBB6_18:
	s_mov_b32 s12, 0
	s_mov_b32 s1, 0
.LBB6_19:
	v_cmp_ge_i32_e32 vcc_lo, v7, v6
	s_xor_b32 s0, s0, -1
	s_andn2_b32 s10, s12, exec_lo
	s_or_b32 s1, s1, exec_lo
	s_or_b32 s0, s0, vcc_lo
	s_and_b32 s0, s0, exec_lo
	s_or_b32 s12, s10, s0
.LBB6_20:
	s_and_saveexec_b32 s10, s12
	s_cbranch_execnz .LBB6_24
; %bb.21:
	s_or_b32 exec_lo, exec_lo, s10
	s_and_saveexec_b32 s0, s1
	s_cbranch_execz .LBB6_23
.LBB6_22:
	v_ashrrev_i32_e32 v10, 31, v7
	v_mul_lo_u32 v11, s19, v7
	v_mad_u64_u32 v[8:9], null, s18, v7, 0
	v_mul_lo_u32 v13, s5, v7
	v_mul_lo_u32 v12, s18, v10
	v_mad_u64_u32 v[6:7], null, s4, v7, 0
	v_mul_lo_u32 v10, s4, v10
	v_lshlrev_b64 v[0:1], 4, v[0:1]
	v_add3_u32 v9, v9, v12, v11
	v_add3_u32 v7, v7, v10, v13
	v_lshlrev_b64 v[8:9], 4, v[8:9]
	v_lshlrev_b64 v[6:7], 4, v[6:7]
	v_add_co_u32 v8, vcc_lo, s6, v8
	v_add_co_ci_u32_e64 v9, null, s7, v9, vcc_lo
	v_add_co_u32 v10, vcc_lo, s8, v6
	v_add_co_ci_u32_e64 v11, null, s9, v7, vcc_lo
	flat_load_dwordx4 v[6:9], v[8:9]
	s_clause 0x1
	flat_load_dwordx4 v[10:13], v[10:11]
	flat_load_dwordx4 v[14:17], v[4:5]
	;; [unrolled: 1-line block ×3, first 2 shown]
	v_add_co_u32 v22, vcc_lo, s2, v0
	v_add_co_ci_u32_e64 v23, null, s3, v1, vcc_lo
	flat_load_dwordx4 v[18:21], v[22:23] offset:1024
	s_waitcnt vmcnt(4) lgkmcnt(4)
	v_mul_f64 v[0:1], s[20:21], v[8:9]
	v_mul_f64 v[8:9], s[22:23], v[8:9]
	s_waitcnt vmcnt(3) lgkmcnt(3)
	v_mul_f64 v[24:25], s[22:23], v[10:11]
	v_mul_f64 v[26:27], s[22:23], v[12:13]
	v_fma_f64 v[0:1], s[22:23], v[6:7], v[0:1]
	v_fma_f64 v[6:7], s[20:21], v[6:7], -v[8:9]
	v_fma_f64 v[8:9], s[20:21], v[12:13], -v[24:25]
	v_fma_f64 v[10:11], s[20:21], v[10:11], v[26:27]
	s_waitcnt vmcnt(2) lgkmcnt(2)
	v_mul_f64 v[12:13], v[16:17], v[0:1]
	v_mul_f64 v[16:17], v[16:17], v[6:7]
	s_waitcnt vmcnt(1) lgkmcnt(1)
	v_mul_f64 v[24:25], v[4:5], v[8:9]
	v_mul_f64 v[4:5], v[4:5], v[10:11]
	v_fma_f64 v[6:7], v[14:15], v[6:7], v[12:13]
	v_fma_f64 v[0:1], v[14:15], v[0:1], -v[16:17]
	v_fma_f64 v[10:11], v[2:3], v[10:11], v[24:25]
	v_fma_f64 v[2:3], v[2:3], v[8:9], -v[4:5]
	v_add_f64 v[4:5], v[6:7], v[10:11]
	v_add_f64 v[2:3], v[0:1], v[2:3]
	s_waitcnt vmcnt(0) lgkmcnt(0)
	v_add_f64 v[0:1], v[18:19], v[4:5]
	v_add_f64 v[2:3], v[20:21], v[2:3]
	flat_store_dwordx4 v[22:23], v[0:3] offset:1024
.LBB6_23:
	s_endpgm
.LBB6_24:
	v_cmp_eq_u32_e32 vcc_lo, v7, v6
	v_cmp_gt_i32_e64 s0, s11, v7
	s_and_b32 s11, vcc_lo, s0
	s_and_saveexec_b32 s0, s11
	s_cbranch_execz .LBB6_26
; %bb.25:
	flat_load_dwordx4 v[8:11], v[2:3]
	flat_load_dwordx4 v[12:15], v[4:5]
	v_lshlrev_b64 v[16:17], 4, v[0:1]
	v_add_co_u32 v16, vcc_lo, s2, v16
	v_add_co_ci_u32_e64 v17, null, s3, v17, vcc_lo
	flat_load_dwordx2 v[18:19], v[16:17] offset:1024
	s_waitcnt vmcnt(2) lgkmcnt(2)
	v_mul_f64 v[20:21], s[20:21], v[10:11]
	v_mul_f64 v[22:23], s[22:23], v[10:11]
	s_waitcnt vmcnt(1) lgkmcnt(1)
	v_mul_f64 v[24:25], s[22:23], v[12:13]
	v_mul_f64 v[26:27], s[22:23], v[14:15]
	v_fma_f64 v[20:21], s[22:23], v[8:9], v[20:21]
	v_fma_f64 v[22:23], s[20:21], v[8:9], -v[22:23]
	v_fma_f64 v[24:25], s[20:21], v[14:15], -v[24:25]
	v_fma_f64 v[26:27], s[20:21], v[12:13], v[26:27]
	v_mul_f64 v[28:29], v[14:15], v[20:21]
	v_mul_f64 v[14:15], v[14:15], v[22:23]
	;; [unrolled: 1-line block ×4, first 2 shown]
	v_fma_f64 v[22:23], v[12:13], v[22:23], v[28:29]
	v_fma_f64 v[12:13], v[12:13], v[20:21], -v[14:15]
	v_fma_f64 v[14:15], v[8:9], v[26:27], v[30:31]
	v_fma_f64 v[10:11], v[8:9], v[24:25], -v[10:11]
	s_waitcnt vmcnt(0) lgkmcnt(0)
	v_add_f64 v[18:19], v[18:19], v[22:23]
	v_add_f64 v[10:11], v[12:13], v[10:11]
	;; [unrolled: 1-line block ×3, first 2 shown]
	flat_store_dwordx4 v[16:17], v[8:11] offset:1024
.LBB6_26:
	s_or_b32 exec_lo, exec_lo, s0
	s_andn2_b32 s1, s1, exec_lo
	s_or_b32 exec_lo, exec_lo, s10
	s_and_saveexec_b32 s0, s1
	s_cbranch_execnz .LBB6_22
	s_branch .LBB6_23
	.section	.rodata,"a",@progbits
	.p2align	6, 0x0
	.amdhsa_kernel _ZL19rocblas_hpr2_kernelILi64ELi16ELi2EPK19rocblas_complex_numIdEPKS3_PKPS1_EvbiT2_T3_lllSA_lllT4_lli
		.amdhsa_group_segment_fixed_size 0
		.amdhsa_private_segment_fixed_size 0
		.amdhsa_kernarg_size 108
		.amdhsa_user_sgpr_count 6
		.amdhsa_user_sgpr_private_segment_buffer 1
		.amdhsa_user_sgpr_dispatch_ptr 0
		.amdhsa_user_sgpr_queue_ptr 0
		.amdhsa_user_sgpr_kernarg_segment_ptr 1
		.amdhsa_user_sgpr_dispatch_id 0
		.amdhsa_user_sgpr_flat_scratch_init 0
		.amdhsa_user_sgpr_private_segment_size 0
		.amdhsa_wavefront_size32 1
		.amdhsa_uses_dynamic_stack 0
		.amdhsa_system_sgpr_private_segment_wavefront_offset 0
		.amdhsa_system_sgpr_workgroup_id_x 1
		.amdhsa_system_sgpr_workgroup_id_y 1
		.amdhsa_system_sgpr_workgroup_id_z 1
		.amdhsa_system_sgpr_workgroup_info 0
		.amdhsa_system_vgpr_workitem_id 1
		.amdhsa_next_free_vgpr 36
		.amdhsa_next_free_sgpr 28
		.amdhsa_reserve_vcc 1
		.amdhsa_reserve_flat_scratch 1
		.amdhsa_float_round_mode_32 0
		.amdhsa_float_round_mode_16_64 0
		.amdhsa_float_denorm_mode_32 3
		.amdhsa_float_denorm_mode_16_64 3
		.amdhsa_dx10_clamp 1
		.amdhsa_ieee_mode 1
		.amdhsa_fp16_overflow 0
		.amdhsa_workgroup_processor_mode 1
		.amdhsa_memory_ordered 1
		.amdhsa_forward_progress 1
		.amdhsa_shared_vgpr_count 0
		.amdhsa_exception_fp_ieee_invalid_op 0
		.amdhsa_exception_fp_denorm_src 0
		.amdhsa_exception_fp_ieee_div_zero 0
		.amdhsa_exception_fp_ieee_overflow 0
		.amdhsa_exception_fp_ieee_underflow 0
		.amdhsa_exception_fp_ieee_inexact 0
		.amdhsa_exception_int_div_zero 0
	.end_amdhsa_kernel
	.section	.text._ZL19rocblas_hpr2_kernelILi64ELi16ELi2EPK19rocblas_complex_numIdEPKS3_PKPS1_EvbiT2_T3_lllSA_lllT4_lli,"axG",@progbits,_ZL19rocblas_hpr2_kernelILi64ELi16ELi2EPK19rocblas_complex_numIdEPKS3_PKPS1_EvbiT2_T3_lllSA_lllT4_lli,comdat
.Lfunc_end6:
	.size	_ZL19rocblas_hpr2_kernelILi64ELi16ELi2EPK19rocblas_complex_numIdEPKS3_PKPS1_EvbiT2_T3_lllSA_lllT4_lli, .Lfunc_end6-_ZL19rocblas_hpr2_kernelILi64ELi16ELi2EPK19rocblas_complex_numIdEPKS3_PKPS1_EvbiT2_T3_lllSA_lllT4_lli
                                        ; -- End function
	.set _ZL19rocblas_hpr2_kernelILi64ELi16ELi2EPK19rocblas_complex_numIdEPKS3_PKPS1_EvbiT2_T3_lllSA_lllT4_lli.num_vgpr, 36
	.set _ZL19rocblas_hpr2_kernelILi64ELi16ELi2EPK19rocblas_complex_numIdEPKS3_PKPS1_EvbiT2_T3_lllSA_lllT4_lli.num_agpr, 0
	.set _ZL19rocblas_hpr2_kernelILi64ELi16ELi2EPK19rocblas_complex_numIdEPKS3_PKPS1_EvbiT2_T3_lllSA_lllT4_lli.numbered_sgpr, 28
	.set _ZL19rocblas_hpr2_kernelILi64ELi16ELi2EPK19rocblas_complex_numIdEPKS3_PKPS1_EvbiT2_T3_lllSA_lllT4_lli.num_named_barrier, 0
	.set _ZL19rocblas_hpr2_kernelILi64ELi16ELi2EPK19rocblas_complex_numIdEPKS3_PKPS1_EvbiT2_T3_lllSA_lllT4_lli.private_seg_size, 0
	.set _ZL19rocblas_hpr2_kernelILi64ELi16ELi2EPK19rocblas_complex_numIdEPKS3_PKPS1_EvbiT2_T3_lllSA_lllT4_lli.uses_vcc, 1
	.set _ZL19rocblas_hpr2_kernelILi64ELi16ELi2EPK19rocblas_complex_numIdEPKS3_PKPS1_EvbiT2_T3_lllSA_lllT4_lli.uses_flat_scratch, 1
	.set _ZL19rocblas_hpr2_kernelILi64ELi16ELi2EPK19rocblas_complex_numIdEPKS3_PKPS1_EvbiT2_T3_lllSA_lllT4_lli.has_dyn_sized_stack, 0
	.set _ZL19rocblas_hpr2_kernelILi64ELi16ELi2EPK19rocblas_complex_numIdEPKS3_PKPS1_EvbiT2_T3_lllSA_lllT4_lli.has_recursion, 0
	.set _ZL19rocblas_hpr2_kernelILi64ELi16ELi2EPK19rocblas_complex_numIdEPKS3_PKPS1_EvbiT2_T3_lllSA_lllT4_lli.has_indirect_call, 0
	.section	.AMDGPU.csdata,"",@progbits
; Kernel info:
; codeLenInByte = 2104
; TotalNumSgprs: 30
; NumVgprs: 36
; ScratchSize: 0
; MemoryBound: 0
; FloatMode: 240
; IeeeMode: 1
; LDSByteSize: 0 bytes/workgroup (compile time only)
; SGPRBlocks: 0
; VGPRBlocks: 4
; NumSGPRsForWavesPerEU: 30
; NumVGPRsForWavesPerEU: 36
; Occupancy: 16
; WaveLimiterHint : 1
; COMPUTE_PGM_RSRC2:SCRATCH_EN: 0
; COMPUTE_PGM_RSRC2:USER_SGPR: 6
; COMPUTE_PGM_RSRC2:TRAP_HANDLER: 0
; COMPUTE_PGM_RSRC2:TGID_X_EN: 1
; COMPUTE_PGM_RSRC2:TGID_Y_EN: 1
; COMPUTE_PGM_RSRC2:TGID_Z_EN: 1
; COMPUTE_PGM_RSRC2:TIDIG_COMP_CNT: 1
	.section	.text._ZL19rocblas_hpr2_kernelILi64ELi16ELi2E19rocblas_complex_numIdEPKPKS1_PKPS1_EvbiT2_T3_lllSA_lllT4_lli,"axG",@progbits,_ZL19rocblas_hpr2_kernelILi64ELi16ELi2E19rocblas_complex_numIdEPKPKS1_PKPS1_EvbiT2_T3_lllSA_lllT4_lli,comdat
	.globl	_ZL19rocblas_hpr2_kernelILi64ELi16ELi2E19rocblas_complex_numIdEPKPKS1_PKPS1_EvbiT2_T3_lllSA_lllT4_lli ; -- Begin function _ZL19rocblas_hpr2_kernelILi64ELi16ELi2E19rocblas_complex_numIdEPKPKS1_PKPS1_EvbiT2_T3_lllSA_lllT4_lli
	.p2align	8
	.type	_ZL19rocblas_hpr2_kernelILi64ELi16ELi2E19rocblas_complex_numIdEPKPKS1_PKPS1_EvbiT2_T3_lllSA_lllT4_lli,@function
_ZL19rocblas_hpr2_kernelILi64ELi16ELi2E19rocblas_complex_numIdEPKPKS1_PKPS1_EvbiT2_T3_lllSA_lllT4_lli: ; @_ZL19rocblas_hpr2_kernelILi64ELi16ELi2E19rocblas_complex_numIdEPKPKS1_PKPS1_EvbiT2_T3_lllSA_lllT4_lli
; %bb.0:
	s_load_dwordx8 s[12:19], s[4:5], 0x8
	s_waitcnt lgkmcnt(0)
	v_cmp_neq_f64_e64 s0, s[12:13], 0
	v_cmp_neq_f64_e64 s1, s[14:15], 0
	s_or_b32 s0, s0, s1
	s_andn2_b32 vcc_lo, exec_lo, s0
	s_cbranch_vccnz .LBB7_23
; %bb.1:
	s_clause 0x4
	s_load_dwordx2 s[24:25], s[4:5], 0x0
	s_load_dwordx4 s[0:3], s[4:5], 0x38
	s_load_dwordx4 s[20:23], s[4:5], 0x58
	s_load_dwordx2 s[10:11], s[4:5], 0x28
	s_load_dwordx2 s[4:5], s[4:5], 0x48
	s_mov_b32 s9, 0
	v_lshl_add_u32 v9, s6, 7, v0
	v_lshl_add_u32 v6, s7, 4, v1
	s_mov_b32 s6, -1
                                        ; implicit-def: $vgpr0
	s_waitcnt lgkmcnt(0)
	s_bitcmp1_b32 s24, 0
	s_cselect_b32 s24, -1, 0
	s_lshl_b64 s[26:27], s[8:9], 3
	s_xor_b32 s24, s24, -1
	s_add_u32 s8, s16, s26
	s_addc_u32 s9, s17, s27
	s_add_u32 s0, s0, s26
	s_addc_u32 s1, s1, s27
	;; [unrolled: 2-line block ×3, first 2 shown]
	s_load_dwordx2 s[8:9], s[8:9], 0x0
	s_load_dwordx2 s[16:17], s[0:1], 0x0
	;; [unrolled: 1-line block ×3, first 2 shown]
	s_and_b32 vcc_lo, exec_lo, s24
	s_cbranch_vccz .LBB7_3
; %bb.2:
	s_lshl_b32 s6, s25, 1
	v_sub_nc_u32_e32 v0, s6, v6
	s_mov_b32 s6, 0
	v_mad_u64_u32 v[0:1], null, v6, v0, v[6:7]
	v_lshrrev_b32_e32 v1, 31, v0
	v_add_nc_u32_e32 v0, v0, v1
	v_sub_nc_u32_e32 v1, v9, v6
	v_ashrrev_i32_e32 v0, 1, v0
	v_add_nc_u32_e32 v0, v1, v0
.LBB7_3:
	s_andn2_b32 vcc_lo, exec_lo, s6
	s_cbranch_vccnz .LBB7_5
; %bb.4:
	v_mad_u64_u32 v[0:1], null, v6, v6, v[6:7]
	v_lshrrev_b32_e32 v1, 31, v0
	v_add_nc_u32_e32 v0, v0, v1
	v_ashrrev_i32_e32 v0, 1, v0
	v_add_nc_u32_e32 v0, v0, v9
.LBB7_5:
	v_ashrrev_i32_e32 v3, 31, v6
	v_mul_lo_u32 v5, s5, v6
	v_mad_u64_u32 v[1:2], null, s4, v6, 0
	v_mul_lo_u32 v8, s11, v6
	v_mul_lo_u32 v7, s4, v3
	;; [unrolled: 1-line block ×3, first 2 shown]
	v_mad_u64_u32 v[3:4], null, s10, v6, 0
	s_lshl_b64 s[6:7], s[18:19], 4
	s_waitcnt lgkmcnt(0)
	s_add_u32 s6, s8, s6
	s_addc_u32 s7, s9, s7
	v_add3_u32 v2, v2, v7, v5
	s_lshl_b64 s[2:3], s[2:3], 4
	v_add3_u32 v4, v4, v10, v8
	s_add_u32 s8, s16, s2
	s_addc_u32 s9, s17, s3
	s_lshl_b64 s[2:3], s[22:23], 4
	v_lshlrev_b64 v[1:2], 4, v[1:2]
	v_lshlrev_b64 v[7:8], 4, v[3:4]
	s_add_u32 s2, s0, s2
	v_cmp_gt_i32_e64 s0, s25, v6
	s_addc_u32 s3, s1, s3
	s_and_b32 vcc_lo, exec_lo, s24
	s_cbranch_vccz .LBB7_7
; %bb.6:
	v_cmp_le_i32_e32 vcc_lo, s25, v9
	v_cmp_le_i32_e64 s1, v9, v6
	s_mov_b32 s17, 0
	s_mov_b32 s16, -1
	s_or_b32 s1, s1, vcc_lo
	s_and_b32 s1, s1, exec_lo
	s_branch .LBB7_8
.LBB7_7:
	s_mov_b32 s17, -1
	s_mov_b32 s1, 0
	s_mov_b32 s16, 0
.LBB7_8:
	v_add_co_u32 v4, vcc_lo, s8, v1
	v_add_co_ci_u32_e64 v5, null, s9, v2, vcc_lo
	v_add_co_u32 v2, vcc_lo, s6, v7
	v_add_co_ci_u32_e64 v3, null, s7, v8, vcc_lo
	s_andn2_b32 vcc_lo, exec_lo, s17
	s_cbranch_vccz .LBB7_14
; %bb.9:
	s_and_saveexec_b32 s17, s1
	s_xor_b32 s17, exec_lo, s17
	s_cbranch_execnz .LBB7_15
.LBB7_10:
	s_or_b32 exec_lo, exec_lo, s17
	v_ashrrev_i32_e32 v1, 31, v0
	s_and_saveexec_b32 s1, s16
	s_cbranch_execz .LBB7_12
.LBB7_11:
	v_ashrrev_i32_e32 v12, 31, v9
	v_mul_lo_u32 v13, s11, v9
	v_mad_u64_u32 v[7:8], null, s10, v9, 0
	v_mul_lo_u32 v15, s5, v9
	v_mul_lo_u32 v14, s10, v12
	v_mad_u64_u32 v[10:11], null, s4, v9, 0
	v_mul_lo_u32 v12, s4, v12
	v_add3_u32 v8, v8, v14, v13
	v_add3_u32 v11, v11, v12, v15
	v_lshlrev_b64 v[7:8], 4, v[7:8]
	v_lshlrev_b64 v[10:11], 4, v[10:11]
	v_add_co_u32 v7, vcc_lo, s6, v7
	v_add_co_ci_u32_e64 v8, null, s7, v8, vcc_lo
	v_add_co_u32 v14, vcc_lo, s8, v10
	v_add_co_ci_u32_e64 v15, null, s9, v11, vcc_lo
	flat_load_dwordx4 v[10:13], v[7:8]
	s_clause 0x1
	flat_load_dwordx4 v[14:17], v[14:15]
	flat_load_dwordx4 v[18:21], v[4:5]
	;; [unrolled: 1-line block ×3, first 2 shown]
	v_lshlrev_b64 v[7:8], 4, v[0:1]
	v_add_co_u32 v7, vcc_lo, s2, v7
	v_add_co_ci_u32_e64 v8, null, s3, v8, vcc_lo
	flat_load_dwordx4 v[26:29], v[7:8]
	s_waitcnt vmcnt(4) lgkmcnt(4)
	v_mul_f64 v[30:31], s[12:13], v[12:13]
	v_mul_f64 v[12:13], s[14:15], v[12:13]
	s_waitcnt vmcnt(3) lgkmcnt(3)
	v_mul_f64 v[32:33], s[14:15], v[14:15]
	v_mul_f64 v[34:35], s[14:15], v[16:17]
	v_fma_f64 v[30:31], s[14:15], v[10:11], v[30:31]
	v_fma_f64 v[10:11], s[12:13], v[10:11], -v[12:13]
	v_fma_f64 v[12:13], s[12:13], v[16:17], -v[32:33]
	v_fma_f64 v[14:15], s[12:13], v[14:15], v[34:35]
	s_waitcnt vmcnt(2) lgkmcnt(2)
	v_mul_f64 v[16:17], v[20:21], v[30:31]
	v_mul_f64 v[20:21], v[20:21], v[10:11]
	s_waitcnt vmcnt(1) lgkmcnt(1)
	v_mul_f64 v[32:33], v[24:25], v[12:13]
	v_mul_f64 v[24:25], v[24:25], v[14:15]
	v_fma_f64 v[10:11], v[18:19], v[10:11], v[16:17]
	v_fma_f64 v[16:17], v[18:19], v[30:31], -v[20:21]
	v_fma_f64 v[14:15], v[22:23], v[14:15], v[32:33]
	v_fma_f64 v[12:13], v[22:23], v[12:13], -v[24:25]
	v_add_f64 v[10:11], v[10:11], v[14:15]
	v_add_f64 v[12:13], v[16:17], v[12:13]
	s_waitcnt vmcnt(0) lgkmcnt(0)
	v_add_f64 v[10:11], v[26:27], v[10:11]
	v_add_f64 v[12:13], v[28:29], v[12:13]
	flat_store_dwordx4 v[7:8], v[10:13]
.LBB7_12:
	s_or_b32 exec_lo, exec_lo, s1
	v_add_nc_u32_e32 v7, 64, v9
	s_andn2_b32 vcc_lo, exec_lo, s24
	v_cmp_gt_i32_e64 s1, s25, v7
	s_cbranch_vccnz .LBB7_18
; %bb.13:
	v_cmp_lt_i32_e32 vcc_lo, v6, v7
	s_and_b32 s1, s1, vcc_lo
	s_xor_b32 s17, s1, -1
	s_and_b32 s1, s1, exec_lo
	s_and_b32 s17, s17, exec_lo
	s_cbranch_execz .LBB7_19
	s_branch .LBB7_20
.LBB7_14:
	v_cmp_lt_i32_e32 vcc_lo, v9, v6
	s_andn2_b32 s16, s16, exec_lo
	s_andn2_b32 s1, s1, exec_lo
	s_and_b32 s17, vcc_lo, s0
	s_xor_b32 s18, s17, -1
	s_and_b32 s17, s17, exec_lo
	s_and_b32 s18, s18, exec_lo
	s_or_b32 s16, s16, s17
	s_or_b32 s1, s1, s18
	s_and_saveexec_b32 s17, s1
	s_xor_b32 s17, exec_lo, s17
	s_cbranch_execz .LBB7_10
.LBB7_15:
	v_cmp_eq_u32_e32 vcc_lo, v9, v6
	v_cmp_gt_i32_e64 s1, s25, v9
	s_and_b32 s18, vcc_lo, s1
	s_and_saveexec_b32 s1, s18
	s_cbranch_execz .LBB7_17
; %bb.16:
	v_ashrrev_i32_e32 v1, 31, v9
	v_mul_lo_u32 v10, s11, v9
	v_mad_u64_u32 v[7:8], null, s10, v9, 0
	v_mul_lo_u32 v16, s5, v9
	v_mul_lo_u32 v11, s10, v1
	v_mad_u64_u32 v[14:15], null, s4, v9, 0
	v_mul_lo_u32 v1, s4, v1
	v_add3_u32 v8, v8, v11, v10
	v_add3_u32 v15, v15, v1, v16
	v_ashrrev_i32_e32 v1, 31, v0
	v_lshlrev_b64 v[7:8], 4, v[7:8]
	v_add_co_u32 v7, vcc_lo, s6, v7
	v_add_co_ci_u32_e64 v8, null, s7, v8, vcc_lo
	flat_load_dwordx4 v[10:13], v[7:8]
	v_lshlrev_b64 v[7:8], 4, v[14:15]
	v_add_co_u32 v7, vcc_lo, s8, v7
	v_add_co_ci_u32_e64 v8, null, s9, v8, vcc_lo
	s_clause 0x1
	flat_load_dwordx4 v[14:17], v[7:8]
	flat_load_dwordx4 v[18:21], v[4:5]
	flat_load_dwordx4 v[22:25], v[2:3]
	v_lshlrev_b64 v[7:8], 4, v[0:1]
	v_add_co_u32 v7, vcc_lo, s2, v7
	v_add_co_ci_u32_e64 v8, null, s3, v8, vcc_lo
	flat_load_dwordx2 v[26:27], v[7:8]
	s_waitcnt vmcnt(4) lgkmcnt(4)
	v_mul_f64 v[28:29], s[12:13], v[12:13]
	v_mul_f64 v[12:13], s[14:15], v[12:13]
	s_waitcnt vmcnt(3) lgkmcnt(3)
	v_mul_f64 v[30:31], s[14:15], v[14:15]
	v_mul_f64 v[32:33], s[14:15], v[16:17]
	v_fma_f64 v[28:29], s[14:15], v[10:11], v[28:29]
	v_fma_f64 v[10:11], s[12:13], v[10:11], -v[12:13]
	v_fma_f64 v[12:13], s[12:13], v[16:17], -v[30:31]
	v_fma_f64 v[14:15], s[12:13], v[14:15], v[32:33]
	s_waitcnt vmcnt(2) lgkmcnt(2)
	v_mul_f64 v[16:17], v[20:21], v[28:29]
	v_mul_f64 v[20:21], v[20:21], v[10:11]
	s_waitcnt vmcnt(1) lgkmcnt(1)
	v_mul_f64 v[30:31], v[24:25], v[12:13]
	v_fma_f64 v[10:11], v[18:19], v[10:11], v[16:17]
	v_mul_f64 v[16:17], v[24:25], v[14:15]
	v_fma_f64 v[18:19], v[18:19], v[28:29], -v[20:21]
	v_fma_f64 v[14:15], v[22:23], v[14:15], v[30:31]
	s_waitcnt vmcnt(0) lgkmcnt(0)
	v_add_f64 v[10:11], v[26:27], v[10:11]
	v_fma_f64 v[12:13], v[22:23], v[12:13], -v[16:17]
	v_add_f64 v[10:11], v[10:11], v[14:15]
	v_add_f64 v[12:13], v[18:19], v[12:13]
	flat_store_dwordx4 v[7:8], v[10:13]
.LBB7_17:
	s_or_b32 exec_lo, exec_lo, s1
	s_andn2_b32 s16, s16, exec_lo
	s_or_b32 exec_lo, exec_lo, s17
	v_ashrrev_i32_e32 v1, 31, v0
	s_and_saveexec_b32 s1, s16
	s_cbranch_execnz .LBB7_11
	s_branch .LBB7_12
.LBB7_18:
	s_mov_b32 s17, 0
	s_mov_b32 s1, 0
.LBB7_19:
	v_cmp_ge_i32_e32 vcc_lo, v7, v6
	s_xor_b32 s0, s0, -1
	s_andn2_b32 s16, s17, exec_lo
	s_or_b32 s1, s1, exec_lo
	s_or_b32 s0, s0, vcc_lo
	s_and_b32 s0, s0, exec_lo
	s_or_b32 s17, s16, s0
.LBB7_20:
	s_and_saveexec_b32 s16, s17
	s_cbranch_execnz .LBB7_24
; %bb.21:
	s_or_b32 exec_lo, exec_lo, s16
	s_and_saveexec_b32 s0, s1
	s_cbranch_execz .LBB7_23
.LBB7_22:
	v_ashrrev_i32_e32 v10, 31, v7
	v_mul_lo_u32 v11, s11, v7
	v_mad_u64_u32 v[8:9], null, s10, v7, 0
	v_mul_lo_u32 v13, s5, v7
	v_mul_lo_u32 v12, s10, v10
	v_mad_u64_u32 v[6:7], null, s4, v7, 0
	v_mul_lo_u32 v10, s4, v10
	v_lshlrev_b64 v[0:1], 4, v[0:1]
	v_add3_u32 v9, v9, v12, v11
	v_add3_u32 v7, v7, v10, v13
	v_lshlrev_b64 v[8:9], 4, v[8:9]
	v_lshlrev_b64 v[6:7], 4, v[6:7]
	v_add_co_u32 v8, vcc_lo, s6, v8
	v_add_co_ci_u32_e64 v9, null, s7, v9, vcc_lo
	v_add_co_u32 v10, vcc_lo, s8, v6
	v_add_co_ci_u32_e64 v11, null, s9, v7, vcc_lo
	flat_load_dwordx4 v[6:9], v[8:9]
	s_clause 0x1
	flat_load_dwordx4 v[10:13], v[10:11]
	flat_load_dwordx4 v[14:17], v[4:5]
	flat_load_dwordx4 v[2:5], v[2:3]
	v_add_co_u32 v22, vcc_lo, s2, v0
	v_add_co_ci_u32_e64 v23, null, s3, v1, vcc_lo
	flat_load_dwordx4 v[18:21], v[22:23] offset:1024
	s_waitcnt vmcnt(4) lgkmcnt(4)
	v_mul_f64 v[0:1], s[12:13], v[8:9]
	v_mul_f64 v[8:9], s[14:15], v[8:9]
	s_waitcnt vmcnt(3) lgkmcnt(3)
	v_mul_f64 v[24:25], s[14:15], v[10:11]
	v_mul_f64 v[26:27], s[14:15], v[12:13]
	v_fma_f64 v[0:1], s[14:15], v[6:7], v[0:1]
	v_fma_f64 v[6:7], s[12:13], v[6:7], -v[8:9]
	v_fma_f64 v[8:9], s[12:13], v[12:13], -v[24:25]
	v_fma_f64 v[10:11], s[12:13], v[10:11], v[26:27]
	s_waitcnt vmcnt(2) lgkmcnt(2)
	v_mul_f64 v[12:13], v[16:17], v[0:1]
	v_mul_f64 v[16:17], v[16:17], v[6:7]
	s_waitcnt vmcnt(1) lgkmcnt(1)
	v_mul_f64 v[24:25], v[4:5], v[8:9]
	v_mul_f64 v[4:5], v[4:5], v[10:11]
	v_fma_f64 v[6:7], v[14:15], v[6:7], v[12:13]
	v_fma_f64 v[0:1], v[14:15], v[0:1], -v[16:17]
	v_fma_f64 v[10:11], v[2:3], v[10:11], v[24:25]
	v_fma_f64 v[2:3], v[2:3], v[8:9], -v[4:5]
	v_add_f64 v[4:5], v[6:7], v[10:11]
	v_add_f64 v[2:3], v[0:1], v[2:3]
	s_waitcnt vmcnt(0) lgkmcnt(0)
	v_add_f64 v[0:1], v[18:19], v[4:5]
	v_add_f64 v[2:3], v[20:21], v[2:3]
	flat_store_dwordx4 v[22:23], v[0:3] offset:1024
.LBB7_23:
	s_endpgm
.LBB7_24:
	v_cmp_eq_u32_e32 vcc_lo, v7, v6
	v_cmp_gt_i32_e64 s0, s25, v7
	s_and_b32 s17, vcc_lo, s0
	s_and_saveexec_b32 s0, s17
	s_cbranch_execz .LBB7_26
; %bb.25:
	flat_load_dwordx4 v[8:11], v[2:3]
	flat_load_dwordx4 v[12:15], v[4:5]
	v_lshlrev_b64 v[16:17], 4, v[0:1]
	v_add_co_u32 v16, vcc_lo, s2, v16
	v_add_co_ci_u32_e64 v17, null, s3, v17, vcc_lo
	flat_load_dwordx2 v[18:19], v[16:17] offset:1024
	s_waitcnt vmcnt(2) lgkmcnt(2)
	v_mul_f64 v[20:21], s[12:13], v[10:11]
	v_mul_f64 v[22:23], s[14:15], v[10:11]
	s_waitcnt vmcnt(1) lgkmcnt(1)
	v_mul_f64 v[24:25], s[14:15], v[12:13]
	v_mul_f64 v[26:27], s[14:15], v[14:15]
	v_fma_f64 v[20:21], s[14:15], v[8:9], v[20:21]
	v_fma_f64 v[22:23], s[12:13], v[8:9], -v[22:23]
	v_fma_f64 v[24:25], s[12:13], v[14:15], -v[24:25]
	v_fma_f64 v[26:27], s[12:13], v[12:13], v[26:27]
	v_mul_f64 v[28:29], v[14:15], v[20:21]
	v_mul_f64 v[14:15], v[14:15], v[22:23]
	;; [unrolled: 1-line block ×4, first 2 shown]
	v_fma_f64 v[22:23], v[12:13], v[22:23], v[28:29]
	v_fma_f64 v[12:13], v[12:13], v[20:21], -v[14:15]
	v_fma_f64 v[14:15], v[8:9], v[26:27], v[30:31]
	v_fma_f64 v[10:11], v[8:9], v[24:25], -v[10:11]
	s_waitcnt vmcnt(0) lgkmcnt(0)
	v_add_f64 v[18:19], v[18:19], v[22:23]
	v_add_f64 v[10:11], v[12:13], v[10:11]
	;; [unrolled: 1-line block ×3, first 2 shown]
	flat_store_dwordx4 v[16:17], v[8:11] offset:1024
.LBB7_26:
	s_or_b32 exec_lo, exec_lo, s0
	s_andn2_b32 s1, s1, exec_lo
	s_or_b32 exec_lo, exec_lo, s16
	s_and_saveexec_b32 s0, s1
	s_cbranch_execnz .LBB7_22
	s_branch .LBB7_23
	.section	.rodata,"a",@progbits
	.p2align	6, 0x0
	.amdhsa_kernel _ZL19rocblas_hpr2_kernelILi64ELi16ELi2E19rocblas_complex_numIdEPKPKS1_PKPS1_EvbiT2_T3_lllSA_lllT4_lli
		.amdhsa_group_segment_fixed_size 0
		.amdhsa_private_segment_fixed_size 0
		.amdhsa_kernarg_size 116
		.amdhsa_user_sgpr_count 6
		.amdhsa_user_sgpr_private_segment_buffer 1
		.amdhsa_user_sgpr_dispatch_ptr 0
		.amdhsa_user_sgpr_queue_ptr 0
		.amdhsa_user_sgpr_kernarg_segment_ptr 1
		.amdhsa_user_sgpr_dispatch_id 0
		.amdhsa_user_sgpr_flat_scratch_init 0
		.amdhsa_user_sgpr_private_segment_size 0
		.amdhsa_wavefront_size32 1
		.amdhsa_uses_dynamic_stack 0
		.amdhsa_system_sgpr_private_segment_wavefront_offset 0
		.amdhsa_system_sgpr_workgroup_id_x 1
		.amdhsa_system_sgpr_workgroup_id_y 1
		.amdhsa_system_sgpr_workgroup_id_z 1
		.amdhsa_system_sgpr_workgroup_info 0
		.amdhsa_system_vgpr_workitem_id 1
		.amdhsa_next_free_vgpr 36
		.amdhsa_next_free_sgpr 28
		.amdhsa_reserve_vcc 1
		.amdhsa_reserve_flat_scratch 1
		.amdhsa_float_round_mode_32 0
		.amdhsa_float_round_mode_16_64 0
		.amdhsa_float_denorm_mode_32 3
		.amdhsa_float_denorm_mode_16_64 3
		.amdhsa_dx10_clamp 1
		.amdhsa_ieee_mode 1
		.amdhsa_fp16_overflow 0
		.amdhsa_workgroup_processor_mode 1
		.amdhsa_memory_ordered 1
		.amdhsa_forward_progress 1
		.amdhsa_shared_vgpr_count 0
		.amdhsa_exception_fp_ieee_invalid_op 0
		.amdhsa_exception_fp_denorm_src 0
		.amdhsa_exception_fp_ieee_div_zero 0
		.amdhsa_exception_fp_ieee_overflow 0
		.amdhsa_exception_fp_ieee_underflow 0
		.amdhsa_exception_fp_ieee_inexact 0
		.amdhsa_exception_int_div_zero 0
	.end_amdhsa_kernel
	.section	.text._ZL19rocblas_hpr2_kernelILi64ELi16ELi2E19rocblas_complex_numIdEPKPKS1_PKPS1_EvbiT2_T3_lllSA_lllT4_lli,"axG",@progbits,_ZL19rocblas_hpr2_kernelILi64ELi16ELi2E19rocblas_complex_numIdEPKPKS1_PKPS1_EvbiT2_T3_lllSA_lllT4_lli,comdat
.Lfunc_end7:
	.size	_ZL19rocblas_hpr2_kernelILi64ELi16ELi2E19rocblas_complex_numIdEPKPKS1_PKPS1_EvbiT2_T3_lllSA_lllT4_lli, .Lfunc_end7-_ZL19rocblas_hpr2_kernelILi64ELi16ELi2E19rocblas_complex_numIdEPKPKS1_PKPS1_EvbiT2_T3_lllSA_lllT4_lli
                                        ; -- End function
	.set _ZL19rocblas_hpr2_kernelILi64ELi16ELi2E19rocblas_complex_numIdEPKPKS1_PKPS1_EvbiT2_T3_lllSA_lllT4_lli.num_vgpr, 36
	.set _ZL19rocblas_hpr2_kernelILi64ELi16ELi2E19rocblas_complex_numIdEPKPKS1_PKPS1_EvbiT2_T3_lllSA_lllT4_lli.num_agpr, 0
	.set _ZL19rocblas_hpr2_kernelILi64ELi16ELi2E19rocblas_complex_numIdEPKPKS1_PKPS1_EvbiT2_T3_lllSA_lllT4_lli.numbered_sgpr, 28
	.set _ZL19rocblas_hpr2_kernelILi64ELi16ELi2E19rocblas_complex_numIdEPKPKS1_PKPS1_EvbiT2_T3_lllSA_lllT4_lli.num_named_barrier, 0
	.set _ZL19rocblas_hpr2_kernelILi64ELi16ELi2E19rocblas_complex_numIdEPKPKS1_PKPS1_EvbiT2_T3_lllSA_lllT4_lli.private_seg_size, 0
	.set _ZL19rocblas_hpr2_kernelILi64ELi16ELi2E19rocblas_complex_numIdEPKPKS1_PKPS1_EvbiT2_T3_lllSA_lllT4_lli.uses_vcc, 1
	.set _ZL19rocblas_hpr2_kernelILi64ELi16ELi2E19rocblas_complex_numIdEPKPKS1_PKPS1_EvbiT2_T3_lllSA_lllT4_lli.uses_flat_scratch, 1
	.set _ZL19rocblas_hpr2_kernelILi64ELi16ELi2E19rocblas_complex_numIdEPKPKS1_PKPS1_EvbiT2_T3_lllSA_lllT4_lli.has_dyn_sized_stack, 0
	.set _ZL19rocblas_hpr2_kernelILi64ELi16ELi2E19rocblas_complex_numIdEPKPKS1_PKPS1_EvbiT2_T3_lllSA_lllT4_lli.has_recursion, 0
	.set _ZL19rocblas_hpr2_kernelILi64ELi16ELi2E19rocblas_complex_numIdEPKPKS1_PKPS1_EvbiT2_T3_lllSA_lllT4_lli.has_indirect_call, 0
	.section	.AMDGPU.csdata,"",@progbits
; Kernel info:
; codeLenInByte = 2100
; TotalNumSgprs: 30
; NumVgprs: 36
; ScratchSize: 0
; MemoryBound: 0
; FloatMode: 240
; IeeeMode: 1
; LDSByteSize: 0 bytes/workgroup (compile time only)
; SGPRBlocks: 0
; VGPRBlocks: 4
; NumSGPRsForWavesPerEU: 30
; NumVGPRsForWavesPerEU: 36
; Occupancy: 16
; WaveLimiterHint : 1
; COMPUTE_PGM_RSRC2:SCRATCH_EN: 0
; COMPUTE_PGM_RSRC2:USER_SGPR: 6
; COMPUTE_PGM_RSRC2:TRAP_HANDLER: 0
; COMPUTE_PGM_RSRC2:TGID_X_EN: 1
; COMPUTE_PGM_RSRC2:TGID_Y_EN: 1
; COMPUTE_PGM_RSRC2:TGID_Z_EN: 1
; COMPUTE_PGM_RSRC2:TIDIG_COMP_CNT: 1
	.section	.AMDGPU.gpr_maximums,"",@progbits
	.set amdgpu.max_num_vgpr, 0
	.set amdgpu.max_num_agpr, 0
	.set amdgpu.max_num_sgpr, 0
	.section	.AMDGPU.csdata,"",@progbits
	.type	__hip_cuid_61eeaaa900c4b68f,@object ; @__hip_cuid_61eeaaa900c4b68f
	.section	.bss,"aw",@nobits
	.globl	__hip_cuid_61eeaaa900c4b68f
__hip_cuid_61eeaaa900c4b68f:
	.byte	0                               ; 0x0
	.size	__hip_cuid_61eeaaa900c4b68f, 1

	.ident	"AMD clang version 22.0.0git (https://github.com/RadeonOpenCompute/llvm-project roc-7.2.4 26084 f58b06dce1f9c15707c5f808fd002e18c2accf7e)"
	.section	".note.GNU-stack","",@progbits
	.addrsig
	.addrsig_sym __hip_cuid_61eeaaa900c4b68f
	.amdgpu_metadata
---
amdhsa.kernels:
  - .args:
      - .offset:         0
        .size:           1
        .value_kind:     by_value
      - .offset:         4
        .size:           4
        .value_kind:     by_value
      - .address_space:  global
        .offset:         8
        .size:           8
        .value_kind:     global_buffer
      - .address_space:  global
        .offset:         16
        .size:           8
        .value_kind:     global_buffer
      - .offset:         24
        .size:           8
        .value_kind:     by_value
      - .offset:         32
        .size:           8
        .value_kind:     by_value
      - .offset:         40
        .size:           8
        .value_kind:     by_value
      - .address_space:  global
        .offset:         48
        .size:           8
        .value_kind:     global_buffer
      - .offset:         56
        .size:           8
        .value_kind:     by_value
      - .offset:         64
        .size:           8
        .value_kind:     by_value
      - .offset:         72
        .size:           8
        .value_kind:     by_value
      - .address_space:  global
        .offset:         80
        .size:           8
        .value_kind:     global_buffer
      - .offset:         88
        .size:           8
        .value_kind:     by_value
      - .offset:         96
        .size:           8
        .value_kind:     by_value
      - .offset:         104
        .size:           4
        .value_kind:     by_value
    .group_segment_fixed_size: 0
    .kernarg_segment_align: 8
    .kernarg_segment_size: 108
    .language:       OpenCL C
    .language_version:
      - 2
      - 0
    .max_flat_workgroup_size: 1024
    .name:           _ZL19rocblas_hpr2_kernelILi64ELi16ELi2EPK19rocblas_complex_numIfES3_PS1_EvbiT2_T3_lllS6_lllT4_lli
    .private_segment_fixed_size: 0
    .sgpr_count:     31
    .sgpr_spill_count: 0
    .symbol:         _ZL19rocblas_hpr2_kernelILi64ELi16ELi2EPK19rocblas_complex_numIfES3_PS1_EvbiT2_T3_lllS6_lllT4_lli.kd
    .uniform_work_group_size: 1
    .uses_dynamic_stack: false
    .vgpr_count:     23
    .vgpr_spill_count: 0
    .wavefront_size: 32
    .workgroup_processor_mode: 1
  - .args:
      - .offset:         0
        .size:           1
        .value_kind:     by_value
      - .offset:         4
        .size:           4
        .value_kind:     by_value
      - .offset:         8
        .size:           8
        .value_kind:     by_value
      - .address_space:  global
        .offset:         16
        .size:           8
        .value_kind:     global_buffer
      - .offset:         24
        .size:           8
        .value_kind:     by_value
      - .offset:         32
        .size:           8
        .value_kind:     by_value
      - .offset:         40
        .size:           8
        .value_kind:     by_value
      - .address_space:  global
        .offset:         48
        .size:           8
        .value_kind:     global_buffer
      - .offset:         56
        .size:           8
        .value_kind:     by_value
      - .offset:         64
        .size:           8
        .value_kind:     by_value
      - .offset:         72
        .size:           8
        .value_kind:     by_value
      - .address_space:  global
        .offset:         80
        .size:           8
        .value_kind:     global_buffer
      - .offset:         88
        .size:           8
        .value_kind:     by_value
      - .offset:         96
        .size:           8
        .value_kind:     by_value
      - .offset:         104
        .size:           4
        .value_kind:     by_value
    .group_segment_fixed_size: 0
    .kernarg_segment_align: 8
    .kernarg_segment_size: 108
    .language:       OpenCL C
    .language_version:
      - 2
      - 0
    .max_flat_workgroup_size: 1024
    .name:           _ZL19rocblas_hpr2_kernelILi64ELi16ELi2E19rocblas_complex_numIfEPKS1_PS1_EvbiT2_T3_lllS6_lllT4_lli
    .private_segment_fixed_size: 0
    .sgpr_count:     34
    .sgpr_spill_count: 0
    .symbol:         _ZL19rocblas_hpr2_kernelILi64ELi16ELi2E19rocblas_complex_numIfEPKS1_PS1_EvbiT2_T3_lllS6_lllT4_lli.kd
    .uniform_work_group_size: 1
    .uses_dynamic_stack: false
    .vgpr_count:     23
    .vgpr_spill_count: 0
    .wavefront_size: 32
    .workgroup_processor_mode: 1
  - .args:
      - .offset:         0
        .size:           1
        .value_kind:     by_value
      - .offset:         4
        .size:           4
        .value_kind:     by_value
      - .address_space:  global
        .offset:         8
        .size:           8
        .value_kind:     global_buffer
      - .address_space:  global
        .offset:         16
        .size:           8
        .value_kind:     global_buffer
      - .offset:         24
        .size:           8
        .value_kind:     by_value
      - .offset:         32
        .size:           8
        .value_kind:     by_value
      - .offset:         40
        .size:           8
        .value_kind:     by_value
      - .address_space:  global
        .offset:         48
        .size:           8
        .value_kind:     global_buffer
      - .offset:         56
        .size:           8
        .value_kind:     by_value
      - .offset:         64
        .size:           8
        .value_kind:     by_value
      - .offset:         72
        .size:           8
        .value_kind:     by_value
      - .address_space:  global
        .offset:         80
        .size:           8
        .value_kind:     global_buffer
      - .offset:         88
        .size:           8
        .value_kind:     by_value
      - .offset:         96
        .size:           8
        .value_kind:     by_value
      - .offset:         104
        .size:           4
        .value_kind:     by_value
    .group_segment_fixed_size: 0
    .kernarg_segment_align: 8
    .kernarg_segment_size: 108
    .language:       OpenCL C
    .language_version:
      - 2
      - 0
    .max_flat_workgroup_size: 1024
    .name:           _ZL19rocblas_hpr2_kernelILi64ELi16ELi2EPK19rocblas_complex_numIdES3_PS1_EvbiT2_T3_lllS6_lllT4_lli
    .private_segment_fixed_size: 0
    .sgpr_count:     34
    .sgpr_spill_count: 0
    .symbol:         _ZL19rocblas_hpr2_kernelILi64ELi16ELi2EPK19rocblas_complex_numIdES3_PS1_EvbiT2_T3_lllS6_lllT4_lli.kd
    .uniform_work_group_size: 1
    .uses_dynamic_stack: false
    .vgpr_count:     36
    .vgpr_spill_count: 0
    .wavefront_size: 32
    .workgroup_processor_mode: 1
  - .args:
      - .offset:         0
        .size:           1
        .value_kind:     by_value
      - .offset:         4
        .size:           4
        .value_kind:     by_value
      - .offset:         8
        .size:           16
        .value_kind:     by_value
      - .address_space:  global
        .offset:         24
        .size:           8
        .value_kind:     global_buffer
      - .offset:         32
        .size:           8
        .value_kind:     by_value
      - .offset:         40
        .size:           8
        .value_kind:     by_value
      - .offset:         48
        .size:           8
        .value_kind:     by_value
      - .address_space:  global
        .offset:         56
        .size:           8
        .value_kind:     global_buffer
      - .offset:         64
        .size:           8
        .value_kind:     by_value
      - .offset:         72
        .size:           8
        .value_kind:     by_value
      - .offset:         80
        .size:           8
        .value_kind:     by_value
      - .address_space:  global
        .offset:         88
        .size:           8
        .value_kind:     global_buffer
      - .offset:         96
        .size:           8
        .value_kind:     by_value
      - .offset:         104
        .size:           8
        .value_kind:     by_value
      - .offset:         112
        .size:           4
        .value_kind:     by_value
    .group_segment_fixed_size: 0
    .kernarg_segment_align: 8
    .kernarg_segment_size: 116
    .language:       OpenCL C
    .language_version:
      - 2
      - 0
    .max_flat_workgroup_size: 1024
    .name:           _ZL19rocblas_hpr2_kernelILi64ELi16ELi2E19rocblas_complex_numIdEPKS1_PS1_EvbiT2_T3_lllS6_lllT4_lli
    .private_segment_fixed_size: 0
    .sgpr_count:     46
    .sgpr_spill_count: 0
    .symbol:         _ZL19rocblas_hpr2_kernelILi64ELi16ELi2E19rocblas_complex_numIdEPKS1_PS1_EvbiT2_T3_lllS6_lllT4_lli.kd
    .uniform_work_group_size: 1
    .uses_dynamic_stack: false
    .vgpr_count:     36
    .vgpr_spill_count: 0
    .wavefront_size: 32
    .workgroup_processor_mode: 1
  - .args:
      - .offset:         0
        .size:           1
        .value_kind:     by_value
      - .offset:         4
        .size:           4
        .value_kind:     by_value
      - .address_space:  global
        .offset:         8
        .size:           8
        .value_kind:     global_buffer
      - .address_space:  global
        .offset:         16
        .size:           8
        .value_kind:     global_buffer
      - .offset:         24
        .size:           8
        .value_kind:     by_value
      - .offset:         32
        .size:           8
        .value_kind:     by_value
      - .offset:         40
        .size:           8
        .value_kind:     by_value
      - .address_space:  global
        .offset:         48
        .size:           8
        .value_kind:     global_buffer
      - .offset:         56
        .size:           8
        .value_kind:     by_value
      - .offset:         64
        .size:           8
        .value_kind:     by_value
      - .offset:         72
        .size:           8
        .value_kind:     by_value
      - .address_space:  global
        .offset:         80
        .size:           8
        .value_kind:     global_buffer
      - .offset:         88
        .size:           8
        .value_kind:     by_value
      - .offset:         96
        .size:           8
        .value_kind:     by_value
      - .offset:         104
        .size:           4
        .value_kind:     by_value
    .group_segment_fixed_size: 0
    .kernarg_segment_align: 8
    .kernarg_segment_size: 108
    .language:       OpenCL C
    .language_version:
      - 2
      - 0
    .max_flat_workgroup_size: 1024
    .name:           _ZL19rocblas_hpr2_kernelILi64ELi16ELi2EPK19rocblas_complex_numIfEPKS3_PKPS1_EvbiT2_T3_lllSA_lllT4_lli
    .private_segment_fixed_size: 0
    .sgpr_count:     28
    .sgpr_spill_count: 0
    .symbol:         _ZL19rocblas_hpr2_kernelILi64ELi16ELi2EPK19rocblas_complex_numIfEPKS3_PKPS1_EvbiT2_T3_lllSA_lllT4_lli.kd
    .uniform_work_group_size: 1
    .uses_dynamic_stack: false
    .vgpr_count:     23
    .vgpr_spill_count: 0
    .wavefront_size: 32
    .workgroup_processor_mode: 1
  - .args:
      - .offset:         0
        .size:           1
        .value_kind:     by_value
      - .offset:         4
        .size:           4
        .value_kind:     by_value
      - .offset:         8
        .size:           8
        .value_kind:     by_value
      - .address_space:  global
        .offset:         16
        .size:           8
        .value_kind:     global_buffer
      - .offset:         24
        .size:           8
        .value_kind:     by_value
      - .offset:         32
        .size:           8
        .value_kind:     by_value
      - .offset:         40
        .size:           8
        .value_kind:     by_value
      - .address_space:  global
        .offset:         48
        .size:           8
        .value_kind:     global_buffer
      - .offset:         56
        .size:           8
        .value_kind:     by_value
      - .offset:         64
        .size:           8
        .value_kind:     by_value
      - .offset:         72
        .size:           8
        .value_kind:     by_value
      - .address_space:  global
        .offset:         80
        .size:           8
        .value_kind:     global_buffer
      - .offset:         88
        .size:           8
        .value_kind:     by_value
      - .offset:         96
        .size:           8
        .value_kind:     by_value
      - .offset:         104
        .size:           4
        .value_kind:     by_value
    .group_segment_fixed_size: 0
    .kernarg_segment_align: 8
    .kernarg_segment_size: 108
    .language:       OpenCL C
    .language_version:
      - 2
      - 0
    .max_flat_workgroup_size: 1024
    .name:           _ZL19rocblas_hpr2_kernelILi64ELi16ELi2E19rocblas_complex_numIfEPKPKS1_PKPS1_EvbiT2_T3_lllSA_lllT4_lli
    .private_segment_fixed_size: 0
    .sgpr_count:     28
    .sgpr_spill_count: 0
    .symbol:         _ZL19rocblas_hpr2_kernelILi64ELi16ELi2E19rocblas_complex_numIfEPKPKS1_PKPS1_EvbiT2_T3_lllSA_lllT4_lli.kd
    .uniform_work_group_size: 1
    .uses_dynamic_stack: false
    .vgpr_count:     23
    .vgpr_spill_count: 0
    .wavefront_size: 32
    .workgroup_processor_mode: 1
  - .args:
      - .offset:         0
        .size:           1
        .value_kind:     by_value
      - .offset:         4
        .size:           4
        .value_kind:     by_value
      - .address_space:  global
        .offset:         8
        .size:           8
        .value_kind:     global_buffer
      - .address_space:  global
        .offset:         16
        .size:           8
        .value_kind:     global_buffer
      - .offset:         24
        .size:           8
        .value_kind:     by_value
      - .offset:         32
        .size:           8
        .value_kind:     by_value
      - .offset:         40
        .size:           8
        .value_kind:     by_value
      - .address_space:  global
        .offset:         48
        .size:           8
        .value_kind:     global_buffer
      - .offset:         56
        .size:           8
        .value_kind:     by_value
      - .offset:         64
        .size:           8
        .value_kind:     by_value
      - .offset:         72
        .size:           8
        .value_kind:     by_value
      - .address_space:  global
        .offset:         80
        .size:           8
        .value_kind:     global_buffer
      - .offset:         88
        .size:           8
        .value_kind:     by_value
      - .offset:         96
        .size:           8
        .value_kind:     by_value
      - .offset:         104
        .size:           4
        .value_kind:     by_value
    .group_segment_fixed_size: 0
    .kernarg_segment_align: 8
    .kernarg_segment_size: 108
    .language:       OpenCL C
    .language_version:
      - 2
      - 0
    .max_flat_workgroup_size: 1024
    .name:           _ZL19rocblas_hpr2_kernelILi64ELi16ELi2EPK19rocblas_complex_numIdEPKS3_PKPS1_EvbiT2_T3_lllSA_lllT4_lli
    .private_segment_fixed_size: 0
    .sgpr_count:     30
    .sgpr_spill_count: 0
    .symbol:         _ZL19rocblas_hpr2_kernelILi64ELi16ELi2EPK19rocblas_complex_numIdEPKS3_PKPS1_EvbiT2_T3_lllSA_lllT4_lli.kd
    .uniform_work_group_size: 1
    .uses_dynamic_stack: false
    .vgpr_count:     36
    .vgpr_spill_count: 0
    .wavefront_size: 32
    .workgroup_processor_mode: 1
  - .args:
      - .offset:         0
        .size:           1
        .value_kind:     by_value
      - .offset:         4
        .size:           4
        .value_kind:     by_value
      - .offset:         8
        .size:           16
        .value_kind:     by_value
      - .address_space:  global
        .offset:         24
        .size:           8
        .value_kind:     global_buffer
      - .offset:         32
        .size:           8
        .value_kind:     by_value
      - .offset:         40
        .size:           8
        .value_kind:     by_value
      - .offset:         48
        .size:           8
        .value_kind:     by_value
      - .address_space:  global
        .offset:         56
        .size:           8
        .value_kind:     global_buffer
      - .offset:         64
        .size:           8
        .value_kind:     by_value
      - .offset:         72
        .size:           8
        .value_kind:     by_value
      - .offset:         80
        .size:           8
        .value_kind:     by_value
      - .address_space:  global
        .offset:         88
        .size:           8
        .value_kind:     global_buffer
      - .offset:         96
        .size:           8
        .value_kind:     by_value
      - .offset:         104
        .size:           8
        .value_kind:     by_value
      - .offset:         112
        .size:           4
        .value_kind:     by_value
    .group_segment_fixed_size: 0
    .kernarg_segment_align: 8
    .kernarg_segment_size: 116
    .language:       OpenCL C
    .language_version:
      - 2
      - 0
    .max_flat_workgroup_size: 1024
    .name:           _ZL19rocblas_hpr2_kernelILi64ELi16ELi2E19rocblas_complex_numIdEPKPKS1_PKPS1_EvbiT2_T3_lllSA_lllT4_lli
    .private_segment_fixed_size: 0
    .sgpr_count:     30
    .sgpr_spill_count: 0
    .symbol:         _ZL19rocblas_hpr2_kernelILi64ELi16ELi2E19rocblas_complex_numIdEPKPKS1_PKPS1_EvbiT2_T3_lllSA_lllT4_lli.kd
    .uniform_work_group_size: 1
    .uses_dynamic_stack: false
    .vgpr_count:     36
    .vgpr_spill_count: 0
    .wavefront_size: 32
    .workgroup_processor_mode: 1
amdhsa.target:   amdgcn-amd-amdhsa--gfx1030
amdhsa.version:
  - 1
  - 2
...

	.end_amdgpu_metadata
